;; amdgpu-corpus repo=zjin-lcf/HeCBench kind=compiled arch=gfx1250 opt=O3
	.amdgcn_target "amdgcn-amd-amdhsa--gfx1250"
	.amdhsa_code_object_version 6
	.text
	.protected	_Z24kernel_128_winograd_BtdBPKfPf ; -- Begin function _Z24kernel_128_winograd_BtdBPKfPf
	.globl	_Z24kernel_128_winograd_BtdBPKfPf
	.p2align	8
	.type	_Z24kernel_128_winograd_BtdBPKfPf,@function
_Z24kernel_128_winograd_BtdBPKfPf:      ; @_Z24kernel_128_winograd_BtdBPKfPf
; %bb.0:
	s_load_b128 s[0:3], s[0:1], 0x0
	s_bfe_u32 s4, ttmp6, 0x4000c
	s_bfe_u32 s6, ttmp6, 0x40010
	s_add_co_i32 s4, s4, 1
	s_and_b32 s5, ttmp6, 15
	s_mul_i32 s4, ttmp9, s4
	s_add_co_i32 s6, s6, 1
	v_bfe_u32 v7, v0, 10, 10
	v_and_b32_e32 v6, 0x3ff, v0
	s_add_co_i32 s5, s5, s4
	s_mul_i32 s4, ttmp7, s6
	s_bfe_u32 s6, ttmp6, 0x40004
	s_getreg_b32 s7, hwreg(HW_REG_IB_STS2, 6, 4)
	s_add_co_i32 s6, s6, s4
	s_cmp_eq_u32 s7, 0
	v_lshl_add_u32 v0, v7, 7, v6
	s_cselect_b32 s4, ttmp9, s5
	s_cselect_b32 s5, ttmp7, s6
	s_lshl_b32 s6, s4, 13
	s_lshl_b32 s7, s5, 9
	v_lshl_add_u32 v8, v7, 9, 0
	v_add3_u32 v0, s6, s7, v0
	s_wait_kmcnt 0x0
	s_clause 0x5
	global_load_b32 v1, v0, s[0:1] scale_offset
	global_load_b32 v2, v0, s[0:1] offset:8192 scale_offset
	global_load_b32 v3, v0, s[0:1] offset:16384 scale_offset
	;; [unrolled: 1-line block ×5, first 2 shown]
	s_wait_xcnt 0x0
	v_lshl_add_u32 v0, v6, 2, v8
	s_mov_b32 s0, exec_lo
	s_wait_loadcnt 0x4
	ds_store_2addr_stride64_b32 v0, v1, v2 offset1:12
	s_wait_loadcnt 0x2
	ds_store_2addr_stride64_b32 v0, v3, v4 offset0:24 offset1:36
	s_wait_loadcnt 0x0
	ds_store_2addr_stride64_b32 v0, v5, v9 offset0:48 offset1:60
	s_wait_dscnt 0x0
	s_barrier_signal -1
	s_barrier_wait -1
                                        ; implicit-def: $vgpr3
                                        ; implicit-def: $vgpr1
                                        ; implicit-def: $vgpr5
	v_cmpx_lt_i32_e32 2, v7
	s_xor_b32 s0, exec_lo, s0
	s_cbranch_execz .LBB0_12
; %bb.1:
	s_mov_b32 s1, exec_lo
                                        ; implicit-def: $vgpr3
                                        ; implicit-def: $vgpr1
                                        ; implicit-def: $vgpr5
	v_cmpx_lt_i32_e32 3, v7
	s_xor_b32 s1, exec_lo, s1
	s_cbranch_execz .LBB0_9
; %bb.2:
	s_mov_b32 s6, exec_lo
                                        ; implicit-def: $vgpr3
                                        ; implicit-def: $vgpr1
                                        ; implicit-def: $vgpr5
	v_cmpx_lt_i32_e32 4, v7
	s_xor_b32 s6, exec_lo, s6
	s_cbranch_execz .LBB0_6
; %bb.3:
	v_dual_mov_b32 v3, 0 :: v_dual_mov_b32 v2, 0
	v_dual_mov_b32 v1, 0 :: v_dual_mov_b32 v0, 0
	;; [unrolled: 1-line block ×3, first 2 shown]
	s_mov_b32 s7, exec_lo
	v_cmpx_eq_u32_e32 5, v7
	s_cbranch_execz .LBB0_5
; %bb.4:
	v_lshl_add_u32 v9, v6, 2, 0
	v_mov_b64_e32 v[16:17], 0x40a0000040800000
	s_mov_b32 s8, 0x40a00000
	ds_load_2addr_stride64_b32 v[0:1], v9 offset0:44 offset1:46
	ds_load_2addr_stride64_b32 v[2:3], v9 offset0:20 offset1:22
	;; [unrolled: 1-line block ×9, first 2 shown]
	s_wait_dscnt 0x8
	v_mul_f32_e32 v22, 0x40a00000, v0
	s_wait_dscnt 0x7
	v_dual_mov_b32 v0, v3 :: v_dual_mul_f32 v2, 4.0, v2
	s_wait_dscnt 0x6
	v_pk_mul_f32 v[4:5], v[4:5], s[8:9] op_sel_hi:[1,0]
	s_wait_dscnt 0x5
	v_pk_mul_f32 v[10:11], v[10:11], s[8:9] op_sel_hi:[1,0]
	v_pk_mul_f32 v[0:1], v[0:1], v[16:17]
	s_wait_dscnt 0x3
	s_delay_alu instid0(VALU_DEP_2) | instskip(NEXT) | instid1(VALU_DEP_2)
	v_pk_fma_f32 v[10:11], v[14:15], 4.0, v[10:11] op_sel_hi:[1,0,1] neg_lo:[0,0,1] neg_hi:[0,0,1]
	v_dual_mov_b32 v3, v0 :: v_dual_mov_b32 v23, v1
	v_pk_fma_f32 v[0:1], v[12:13], 4.0, v[4:5] op_sel_hi:[1,0,1] neg_lo:[0,0,1] neg_hi:[0,0,1]
	s_delay_alu instid0(VALU_DEP_2) | instskip(SKIP_1) | instid1(VALU_DEP_2)
	v_pk_add_f32 v[2:3], v[2:3], v[22:23] neg_lo:[0,1] neg_hi:[0,1]
	s_wait_dscnt 0x2
	v_pk_add_f32 v[4:5], v[18:19], v[0:1]
	s_wait_dscnt 0x1
	v_pk_add_f32 v[0:1], v[20:21], v[10:11]
	;; [unrolled: 2-line block ×3, first 2 shown]
.LBB0_5:
	s_or_b32 exec_lo, exec_lo, s7
.LBB0_6:
	s_and_not1_saveexec_b32 s6, s6
	s_cbranch_execz .LBB0_8
; %bb.7:
	v_lshl_add_u32 v9, v6, 2, 0
	ds_load_2addr_stride64_b32 v[0:1], v9 offset0:44 offset1:46
	ds_load_2addr_stride64_b32 v[2:3], v9 offset0:20 offset1:22
	;; [unrolled: 1-line block ×12, first 2 shown]
	s_wait_dscnt 0xa
	v_dual_add_f32 v22, v0, v0 :: v_dual_mov_b32 v0, v3
	s_wait_dscnt 0x8
	v_pk_fma_f32 v[4:5], v[4:5], 2.0, v[10:11] op_sel_hi:[1,0,1] neg_lo:[0,0,1] neg_hi:[0,0,1]
	s_wait_dscnt 0x6
	v_pk_fma_f32 v[10:11], v[12:13], 2.0, v[14:15] op_sel_hi:[1,0,1] neg_lo:[0,0,1] neg_hi:[0,0,1]
	v_pk_add_f32 v[0:1], v[0:1], v[0:1]
	v_add_f32_e32 v2, v2, v2
	s_wait_dscnt 0x3
	s_delay_alu instid0(VALU_DEP_3) | instskip(NEXT) | instid1(VALU_DEP_3)
	v_pk_fma_f32 v[10:11], v[20:21], 2.0, v[10:11] op_sel_hi:[1,0,1] neg_lo:[1,0,0] neg_hi:[1,0,0]
	v_dual_mov_b32 v3, v0 :: v_dual_mov_b32 v23, v1
	v_pk_fma_f32 v[0:1], v[18:19], 2.0, v[4:5] op_sel_hi:[1,0,1] neg_lo:[1,0,0] neg_hi:[1,0,0]
	s_delay_alu instid0(VALU_DEP_2) | instskip(SKIP_1) | instid1(VALU_DEP_2)
	v_pk_add_f32 v[2:3], v[2:3], v[16:17] neg_lo:[0,1] neg_hi:[0,1]
	s_wait_dscnt 0x2
	v_pk_add_f32 v[4:5], v[24:25], v[0:1]
	s_wait_dscnt 0x1
	v_pk_add_f32 v[0:1], v[26:27], v[10:11]
	v_pk_add_f32 v[2:3], v[2:3], v[22:23] neg_lo:[0,1] neg_hi:[0,1]
	s_wait_dscnt 0x0
	s_delay_alu instid0(VALU_DEP_1)
	v_pk_add_f32 v[2:3], v[28:29], v[2:3]
.LBB0_8:
	s_or_b32 exec_lo, exec_lo, s6
.LBB0_9:
	s_and_not1_saveexec_b32 s1, s1
	s_cbranch_execz .LBB0_11
; %bb.10:
	v_lshl_add_u32 v9, v6, 2, 0
	v_mov_b64_e32 v[18:19], 0x40000000c0000000
	ds_load_2addr_stride64_b32 v[0:1], v9 offset0:44 offset1:46
	ds_load_2addr_stride64_b32 v[2:3], v9 offset0:20 offset1:22
	;; [unrolled: 1-line block ×11, first 2 shown]
	s_wait_dscnt 0x9
	v_dual_add_f32 v24, v0, v0 :: v_dual_mov_b32 v0, v3
	s_wait_dscnt 0x7
	v_pk_fma_f32 v[4:5], v[4:5], -2.0, v[10:11] op_sel_hi:[1,0,1] neg_lo:[0,0,1] neg_hi:[0,0,1]
	s_wait_dscnt 0x5
	v_pk_fma_f32 v[10:11], v[12:13], -2.0, v[14:15] op_sel_hi:[1,0,1] neg_lo:[0,0,1] neg_hi:[0,0,1]
	v_pk_mul_f32 v[0:1], v[0:1], v[18:19]
	ds_load_2addr_stride64_b32 v[18:19], v9 offset0:56 offset1:58
	v_mul_f32_e32 v2, -2.0, v2
	s_wait_dscnt 0x3
	v_pk_fma_f32 v[10:11], v[22:23], 2.0, v[10:11] op_sel_hi:[1,0,1]
	v_dual_mov_b32 v3, v0 :: v_dual_mov_b32 v25, v1
	v_pk_fma_f32 v[0:1], v[20:21], 2.0, v[4:5] op_sel_hi:[1,0,1]
	s_delay_alu instid0(VALU_DEP_2) | instskip(SKIP_1) | instid1(VALU_DEP_2)
	v_pk_add_f32 v[2:3], v[2:3], v[16:17] neg_lo:[0,1] neg_hi:[0,1]
	s_wait_dscnt 0x2
	v_pk_add_f32 v[4:5], v[26:27], v[0:1]
	s_wait_dscnt 0x1
	v_pk_add_f32 v[0:1], v[28:29], v[10:11]
	v_pk_add_f32 v[2:3], v[2:3], v[24:25]
	s_wait_dscnt 0x0
	s_delay_alu instid0(VALU_DEP_1)
	v_pk_add_f32 v[2:3], v[18:19], v[2:3]
.LBB0_11:
	s_or_b32 exec_lo, exec_lo, s1
.LBB0_12:
	s_and_not1_saveexec_b32 s0, s0
	s_cbranch_execz .LBB0_22
; %bb.13:
	s_mov_b32 s1, exec_lo
                                        ; implicit-def: $vgpr3
                                        ; implicit-def: $vgpr1
                                        ; implicit-def: $vgpr5
	v_cmpx_lt_i32_e32 0, v7
	s_xor_b32 s1, exec_lo, s1
	s_cbranch_execz .LBB0_19
; %bb.14:
	s_mov_b32 s6, exec_lo
                                        ; implicit-def: $vgpr3
                                        ; implicit-def: $vgpr1
                                        ; implicit-def: $vgpr5
	v_cmpx_lt_i32_e32 1, v7
	s_xor_b32 s6, exec_lo, s6
	s_cbranch_execz .LBB0_16
; %bb.15:
	v_lshl_add_u32 v9, v6, 2, 0
	ds_load_2addr_stride64_b32 v[0:1], v9 offset0:32 offset1:34
	ds_load_2addr_stride64_b32 v[2:3], v9 offset0:20 offset1:22
	;; [unrolled: 1-line block ×12, first 2 shown]
	s_wait_dscnt 0xa
	v_dual_mul_f32 v20, 4.0, v0 :: v_dual_mov_b32 v0, v3
	s_wait_dscnt 0x9
	v_pk_mul_f32 v[4:5], v[4:5], 4.0 op_sel_hi:[1,0]
	s_wait_dscnt 0x8
	v_pk_mul_f32 v[10:11], v[10:11], 4.0 op_sel_hi:[1,0]
	v_pk_mul_f32 v[0:1], v[0:1], 4.0 op_sel_hi:[1,0]
	s_delay_alu instid0(VALU_DEP_1) | instskip(NEXT) | instid1(VALU_DEP_2)
	v_dual_mul_f32 v2, 4.0, v2 :: v_dual_mov_b32 v3, v0
	v_mov_b32_e32 v21, v1
	s_wait_dscnt 0x7
	v_pk_fma_f32 v[0:1], v[12:13], 4.0, v[4:5] op_sel_hi:[1,0,1] neg_lo:[0,0,1] neg_hi:[0,0,1]
	s_wait_dscnt 0x6
	v_pk_fma_f32 v[4:5], v[14:15], 4.0, v[10:11] op_sel_hi:[1,0,1] neg_lo:[0,0,1] neg_hi:[0,0,1]
	v_pk_add_f32 v[2:3], v[2:3], v[20:21] neg_lo:[0,1] neg_hi:[0,1]
	s_wait_dscnt 0x5
	v_pk_add_f32 v[0:1], v[0:1], v[16:17] neg_lo:[0,1] neg_hi:[0,1]
	s_wait_dscnt 0x4
	;; [unrolled: 2-line block ×4, first 2 shown]
	v_pk_add_f32 v[4:5], v[24:25], v[0:1]
	s_wait_dscnt 0x1
	v_pk_add_f32 v[0:1], v[26:27], v[10:11]
	s_wait_dscnt 0x0
	v_pk_add_f32 v[2:3], v[28:29], v[2:3]
.LBB0_16:
	s_and_not1_saveexec_b32 s6, s6
	s_cbranch_execz .LBB0_18
; %bb.17:
	v_lshl_add_u32 v9, v6, 2, 0
	v_mov_b64_e32 v[16:17], 0x40800000c0800000
	ds_load_2addr_stride64_b32 v[0:1], v9 offset0:32 offset1:34
	ds_load_2addr_stride64_b32 v[2:3], v9 offset0:20 offset1:22
	;; [unrolled: 1-line block ×11, first 2 shown]
	s_wait_dscnt 0x9
	v_dual_mul_f32 v22, 4.0, v0 :: v_dual_mov_b32 v0, v3
	s_wait_dscnt 0x8
	v_pk_mul_f32 v[4:5], v[4:5], 4.0 op_sel_hi:[1,0]
	s_wait_dscnt 0x7
	v_pk_mul_f32 v[10:11], v[10:11], 4.0 op_sel_hi:[1,0]
	v_pk_mul_f32 v[0:1], v[0:1], v[16:17]
	ds_load_2addr_stride64_b32 v[16:17], v9 offset0:56 offset1:58
	v_dual_mul_f32 v2, -4.0, v2 :: v_dual_mov_b32 v3, v0
	v_mov_b32_e32 v23, v1
	s_wait_dscnt 0x7
	v_pk_fma_f32 v[0:1], v[12:13], -4.0, v[4:5] op_sel_hi:[1,0,1] neg_lo:[0,0,1] neg_hi:[0,0,1]
	s_wait_dscnt 0x6
	v_pk_fma_f32 v[4:5], v[14:15], -4.0, v[10:11] op_sel_hi:[1,0,1] neg_lo:[0,0,1] neg_hi:[0,0,1]
	v_pk_add_f32 v[2:3], v[2:3], v[22:23] neg_lo:[0,1] neg_hi:[0,1]
	s_wait_dscnt 0x5
	v_pk_add_f32 v[0:1], v[18:19], v[0:1]
	s_wait_dscnt 0x4
	v_pk_add_f32 v[10:11], v[20:21], v[4:5]
	;; [unrolled: 2-line block ×6, first 2 shown]
.LBB0_18:
	s_or_b32 exec_lo, exec_lo, s6
.LBB0_19:
	s_and_not1_saveexec_b32 s1, s1
	s_cbranch_execz .LBB0_21
; %bb.20:
	v_lshl_add_u32 v9, v6, 2, 0
	v_mov_b64_e32 v[16:17], 0x40a0000040800000
	s_mov_b32 s6, 0x40a00000
	ds_load_2addr_stride64_b32 v[0:1], v9 offset0:32 offset1:34
	ds_load_2addr_stride64_b32 v[2:3], v9 offset0:8 offset1:10
	;; [unrolled: 1-line block ×4, first 2 shown]
	ds_load_2addr_stride64_b32 v[12:13], v9 offset1:2
	ds_load_2addr_stride64_b32 v[14:15], v9 offset0:4 offset1:6
	ds_load_2addr_stride64_b32 v[18:19], v9 offset0:48 offset1:50
	;; [unrolled: 1-line block ×4, first 2 shown]
	s_wait_dscnt 0x8
	v_mul_f32_e32 v22, 0x40a00000, v0
	s_wait_dscnt 0x7
	v_dual_mov_b32 v0, v3 :: v_dual_mul_f32 v2, 4.0, v2
	s_wait_dscnt 0x6
	v_pk_mul_f32 v[4:5], v[4:5], s[6:7] op_sel_hi:[1,0]
	s_wait_dscnt 0x5
	v_pk_mul_f32 v[10:11], v[10:11], s[6:7] op_sel_hi:[1,0]
	v_pk_mul_f32 v[0:1], v[0:1], v[16:17]
	s_wait_dscnt 0x3
	s_delay_alu instid0(VALU_DEP_2) | instskip(NEXT) | instid1(VALU_DEP_2)
	v_pk_fma_f32 v[10:11], v[14:15], 4.0, v[10:11] op_sel_hi:[1,0,1] neg_lo:[0,0,1] neg_hi:[0,0,1]
	v_dual_mov_b32 v3, v0 :: v_dual_mov_b32 v23, v1
	v_pk_fma_f32 v[0:1], v[12:13], 4.0, v[4:5] op_sel_hi:[1,0,1] neg_lo:[0,0,1] neg_hi:[0,0,1]
	s_delay_alu instid0(VALU_DEP_2) | instskip(SKIP_1) | instid1(VALU_DEP_2)
	v_pk_add_f32 v[2:3], v[2:3], v[22:23] neg_lo:[0,1] neg_hi:[0,1]
	s_wait_dscnt 0x2
	v_pk_add_f32 v[4:5], v[18:19], v[0:1]
	s_wait_dscnt 0x1
	v_pk_add_f32 v[0:1], v[20:21], v[10:11]
	;; [unrolled: 2-line block ×3, first 2 shown]
.LBB0_21:
	s_or_b32 exec_lo, exec_lo, s1
.LBB0_22:
	s_delay_alu instid0(SALU_CYCLE_1)
	s_or_b32 exec_lo, exec_lo, s0
	v_mul_u32_u24_e32 v9, 0xa00, v7
	v_lshlrev_b32_e32 v10, 2, v6
	s_mov_b32 s0, exec_lo
	s_barrier_signal -1
	s_barrier_wait -1
	s_delay_alu instid0(VALU_DEP_1)
	v_add3_u32 v8, v8, v9, v10
	ds_store_2addr_stride64_b32 v8, v4, v5 offset1:2
	ds_store_2addr_stride64_b32 v8, v0, v1 offset0:4 offset1:6
	ds_store_2addr_stride64_b32 v8, v2, v3 offset0:8 offset1:10
	s_wait_dscnt 0x0
	s_barrier_signal -1
	s_barrier_wait -1
                                        ; implicit-def: $vgpr1
                                        ; implicit-def: $vgpr3
                                        ; implicit-def: $vgpr5
	v_cmpx_lt_i32_e32 2, v7
	s_xor_b32 s0, exec_lo, s0
	s_cbranch_execz .LBB0_34
; %bb.23:
	s_mov_b32 s1, exec_lo
                                        ; implicit-def: $vgpr1
                                        ; implicit-def: $vgpr3
                                        ; implicit-def: $vgpr5
	v_cmpx_lt_i32_e32 3, v7
	s_xor_b32 s1, exec_lo, s1
	s_cbranch_execz .LBB0_31
; %bb.24:
	s_mov_b32 s6, exec_lo
                                        ; implicit-def: $vgpr1
                                        ; implicit-def: $vgpr3
                                        ; implicit-def: $vgpr5
	v_cmpx_lt_i32_e32 4, v7
	s_xor_b32 s6, exec_lo, s6
	s_cbranch_execz .LBB0_28
; %bb.25:
	v_dual_mov_b32 v1, 0 :: v_dual_mov_b32 v0, 0
	v_dual_mov_b32 v3, 0 :: v_dual_mov_b32 v2, 0
	;; [unrolled: 1-line block ×3, first 2 shown]
	s_mov_b32 s7, exec_lo
	v_cmpx_eq_u32_e32 5, v7
	s_cbranch_execz .LBB0_27
; %bb.26:
	v_lshl_add_u32 v18, v6, 2, 0
	v_mov_b64_e32 v[20:21], 0x40a0000040800000
	s_mov_b32 s8, 0x40a00000
	ds_load_2addr_stride64_b32 v[0:1], v18 offset0:2 offset1:6
	ds_load_2addr_stride64_b32 v[2:3], v18 offset0:10 offset1:14
	;; [unrolled: 1-line block ×9, first 2 shown]
	s_wait_dscnt 0x7
	v_dual_mov_b32 v22, v0 :: v_dual_mov_b32 v23, v3
	s_wait_dscnt 0x6
	v_dual_mov_b32 v0, v1 :: v_dual_mov_b32 v1, v4
	;; [unrolled: 2-line block ×5, first 2 shown]
	v_pk_mul_f32 v[20:21], v[24:25], v[20:21]
	s_wait_dscnt 0x0
	v_mul_f32_e32 v18, 4.0, v18
	v_mul_f32_e32 v24, 0x40a00000, v19
	v_pk_mul_f32 v[0:1], v[0:1], s[8:9] op_sel_hi:[1,0]
	v_pk_mul_f32 v[12:13], v[12:13], s[8:9] op_sel_hi:[1,0]
	v_dual_mov_b32 v19, v20 :: v_dual_mov_b32 v25, v21
	v_dual_mov_b32 v3, v5 :: v_dual_mov_b32 v15, v17
	s_delay_alu instid0(VALU_DEP_4) | instskip(NEXT) | instid1(VALU_DEP_4)
	v_pk_fma_f32 v[0:1], v[22:23], 4.0, v[0:1] op_sel_hi:[1,0,1] neg_lo:[0,0,1] neg_hi:[0,0,1]
	v_pk_fma_f32 v[12:13], v[26:27], 4.0, v[12:13] op_sel_hi:[1,0,1] neg_lo:[0,0,1] neg_hi:[0,0,1]
	s_delay_alu instid0(VALU_DEP_4) | instskip(SKIP_1) | instid1(VALU_DEP_4)
	v_pk_add_f32 v[16:17], v[18:19], v[24:25] neg_lo:[0,1] neg_hi:[0,1]
	v_mov_b32_e32 v9, v11
	v_pk_add_f32 v[4:5], v[2:3], v[0:1]
	s_delay_alu instid0(VALU_DEP_4) | instskip(NEXT) | instid1(VALU_DEP_3)
	v_pk_add_f32 v[2:3], v[14:15], v[12:13]
	v_pk_add_f32 v[0:1], v[8:9], v[16:17]
.LBB0_27:
	s_or_b32 exec_lo, exec_lo, s7
.LBB0_28:
	s_and_not1_saveexec_b32 s6, s6
	s_cbranch_execz .LBB0_30
; %bb.29:
	v_lshl_add_u32 v24, v6, 2, 0
	ds_load_2addr_stride64_b32 v[0:1], v24 offset0:2 offset1:4
	ds_load_2addr_stride64_b32 v[2:3], v24 offset0:14 offset1:16
	;; [unrolled: 1-line block ×12, first 2 shown]
	s_wait_dscnt 0xa
	v_dual_mov_b32 v26, v0 :: v_dual_mov_b32 v27, v2
	s_wait_dscnt 0x9
	v_dual_mov_b32 v2, v1 :: v_dual_mov_b32 v0, v4
	;; [unrolled: 2-line block ×5, first 2 shown]
	v_pk_add_f32 v[14:15], v[28:29], v[28:29]
	s_wait_dscnt 0x1
	v_dual_add_f32 v22, v22, v22 :: v_dual_mov_b32 v8, v23
	v_dual_mov_b32 v28, v18 :: v_dual_mov_b32 v29, v20
	s_wait_dscnt 0x0
	v_dual_mov_b32 v23, v14 :: v_dual_add_f32 v14, v24, v24
	v_pk_fma_f32 v[2:3], v[26:27], 2.0, v[2:3] op_sel_hi:[1,0,1] neg_lo:[0,0,1] neg_hi:[0,0,1]
	v_pk_fma_f32 v[16:17], v[30:31], 2.0, v[16:17] op_sel_hi:[1,0,1] neg_lo:[0,0,1] neg_hi:[0,0,1]
	v_dual_mov_b32 v12, v5 :: v_dual_mov_b32 v20, v19
	s_delay_alu instid0(VALU_DEP_4) | instskip(NEXT) | instid1(VALU_DEP_4)
	v_pk_add_f32 v[8:9], v[22:23], v[8:9] neg_lo:[0,1] neg_hi:[0,1]
	v_pk_fma_f32 v[0:1], v[0:1], 2.0, v[2:3] op_sel_hi:[1,0,1] neg_lo:[1,0,0] neg_hi:[1,0,0]
	s_delay_alu instid0(VALU_DEP_4) | instskip(SKIP_1) | instid1(VALU_DEP_4)
	v_pk_fma_f32 v[2:3], v[28:29], 2.0, v[16:17] op_sel_hi:[1,0,1] neg_lo:[1,0,0] neg_hi:[1,0,0]
	v_mov_b32_e32 v10, v25
	v_pk_add_f32 v[8:9], v[8:9], v[14:15] neg_lo:[0,1] neg_hi:[0,1]
	s_delay_alu instid0(VALU_DEP_4) | instskip(NEXT) | instid1(VALU_DEP_4)
	v_pk_add_f32 v[4:5], v[12:13], v[0:1]
	v_pk_add_f32 v[2:3], v[20:21], v[2:3]
	s_delay_alu instid0(VALU_DEP_3)
	v_pk_add_f32 v[0:1], v[10:11], v[8:9]
.LBB0_30:
	s_or_b32 exec_lo, exec_lo, s6
.LBB0_31:
	s_and_not1_saveexec_b32 s1, s1
	s_cbranch_execz .LBB0_33
; %bb.32:
	v_lshl_add_u32 v24, v6, 2, 0
	v_mov_b64_e32 v[26:27], 0x40000000c0000000
	ds_load_2addr_stride64_b32 v[0:1], v24 offset0:2 offset1:4
	ds_load_2addr_stride64_b32 v[2:3], v24 offset0:14 offset1:16
	;; [unrolled: 1-line block ×12, first 2 shown]
	s_wait_dscnt 0xa
	v_dual_mov_b32 v28, v0 :: v_dual_mov_b32 v29, v2
	s_wait_dscnt 0x9
	v_dual_mov_b32 v2, v1 :: v_dual_mov_b32 v0, v4
	;; [unrolled: 2-line block ×5, first 2 shown]
	v_pk_mul_f32 v[14:15], v[30:31], v[26:27]
	s_wait_dscnt 0x1
	v_dual_mul_f32 v22, -2.0, v22 :: v_dual_mov_b32 v8, v23
	v_dual_mov_b32 v26, v18 :: v_dual_mov_b32 v27, v20
	s_wait_dscnt 0x0
	v_dual_mov_b32 v23, v14 :: v_dual_add_f32 v14, v24, v24
	v_pk_fma_f32 v[2:3], v[28:29], -2.0, v[2:3] op_sel_hi:[1,0,1] neg_lo:[0,0,1] neg_hi:[0,0,1]
	v_pk_fma_f32 v[16:17], v[32:33], -2.0, v[16:17] op_sel_hi:[1,0,1] neg_lo:[0,0,1] neg_hi:[0,0,1]
	v_dual_mov_b32 v12, v5 :: v_dual_mov_b32 v20, v19
	s_delay_alu instid0(VALU_DEP_4) | instskip(NEXT) | instid1(VALU_DEP_4)
	v_pk_add_f32 v[8:9], v[22:23], v[8:9] neg_lo:[0,1] neg_hi:[0,1]
	v_pk_fma_f32 v[0:1], v[0:1], 2.0, v[2:3] op_sel_hi:[1,0,1]
	s_delay_alu instid0(VALU_DEP_4) | instskip(SKIP_1) | instid1(VALU_DEP_4)
	v_pk_fma_f32 v[2:3], v[26:27], 2.0, v[16:17] op_sel_hi:[1,0,1]
	v_mov_b32_e32 v10, v25
	v_pk_add_f32 v[8:9], v[8:9], v[14:15]
	s_delay_alu instid0(VALU_DEP_4) | instskip(NEXT) | instid1(VALU_DEP_4)
	v_pk_add_f32 v[4:5], v[12:13], v[0:1]
	v_pk_add_f32 v[2:3], v[20:21], v[2:3]
	s_delay_alu instid0(VALU_DEP_3)
	v_pk_add_f32 v[0:1], v[10:11], v[8:9]
.LBB0_33:
	s_or_b32 exec_lo, exec_lo, s1
.LBB0_34:
	s_and_not1_saveexec_b32 s0, s0
	s_cbranch_execz .LBB0_44
; %bb.35:
	s_mov_b32 s1, exec_lo
                                        ; implicit-def: $vgpr1
                                        ; implicit-def: $vgpr3
                                        ; implicit-def: $vgpr5
	v_cmpx_lt_i32_e32 0, v7
	s_xor_b32 s1, exec_lo, s1
	s_cbranch_execz .LBB0_41
; %bb.36:
	s_mov_b32 s6, exec_lo
                                        ; implicit-def: $vgpr1
                                        ; implicit-def: $vgpr3
                                        ; implicit-def: $vgpr5
	v_cmpx_lt_i32_e32 1, v7
	s_xor_b32 s6, exec_lo, s6
	s_cbranch_execz .LBB0_38
; %bb.37:
	v_lshl_add_u32 v24, v6, 2, 0
	ds_load_2addr_stride64_b32 v[0:1], v24 offset0:2 offset1:4
	ds_load_2addr_stride64_b32 v[2:3], v24 offset0:14 offset1:16
	ds_load_2addr_stride64_b32 v[4:5], v24 offset0:6 offset1:8
	ds_load_2addr_stride64_b32 v[8:9], v24 offset0:18 offset1:20
	ds_load_2addr_stride64_b32 v[10:11], v24 offset0:26 offset1:28
	ds_load_2addr_stride64_b32 v[12:13], v24 offset0:38 offset1:40
	ds_load_2addr_stride64_b32 v[14:15], v24 offset0:30 offset1:32
	ds_load_2addr_stride64_b32 v[16:17], v24 offset0:42 offset1:44
	ds_load_2addr_stride64_b32 v[18:19], v24 offset0:62 offset1:64
	ds_load_2addr_stride64_b32 v[20:21], v24 offset0:50 offset1:52
	ds_load_2addr_stride64_b32 v[22:23], v24 offset0:54 offset1:56
	ds_load_2addr_stride64_b32 v[24:25], v24 offset0:66 offset1:68
	s_wait_dscnt 0xa
	v_dual_mov_b32 v26, v0 :: v_dual_mov_b32 v27, v2
	s_wait_dscnt 0x9
	v_dual_mov_b32 v2, v1 :: v_dual_mov_b32 v0, v4
	;; [unrolled: 2-line block ×5, first 2 shown]
	s_wait_dscnt 0x3
	v_pk_mul_f32 v[18:19], v[18:19], 4.0 op_sel_hi:[1,0]
	s_wait_dscnt 0x2
	v_dual_mov_b32 v11, v16 :: v_dual_mul_f32 v20, 4.0, v20
	v_mul_f32_e32 v28, 4.0, v21
	v_pk_mul_f32 v[2:3], v[2:3], 4.0 op_sel_hi:[1,0]
	v_pk_mul_f32 v[12:13], v[12:13], 4.0 op_sel_hi:[1,0]
	v_dual_mov_b32 v21, v18 :: v_dual_mov_b32 v29, v19
	s_wait_dscnt 0x0
	v_dual_mov_b32 v18, v22 :: v_dual_mov_b32 v19, v24
	v_mov_b32_e32 v16, v15
	v_pk_fma_f32 v[2:3], v[26:27], 4.0, v[2:3] op_sel_hi:[1,0,1] neg_lo:[0,0,1] neg_hi:[0,0,1]
	v_pk_fma_f32 v[4:5], v[4:5], 4.0, v[12:13] op_sel_hi:[1,0,1] neg_lo:[0,0,1] neg_hi:[0,0,1]
	v_pk_add_f32 v[12:13], v[20:21], v[28:29] neg_lo:[0,1] neg_hi:[0,1]
	v_mov_b32_e32 v24, v23
	s_delay_alu instid0(VALU_DEP_4) | instskip(NEXT) | instid1(VALU_DEP_4)
	v_pk_add_f32 v[0:1], v[2:3], v[0:1] neg_lo:[0,1] neg_hi:[0,1]
	v_pk_add_f32 v[2:3], v[4:5], v[10:11] neg_lo:[0,1] neg_hi:[0,1]
	s_delay_alu instid0(VALU_DEP_4) | instskip(NEXT) | instid1(VALU_DEP_3)
	v_pk_add_f32 v[10:11], v[12:13], v[18:19] neg_lo:[0,1] neg_hi:[0,1]
	v_pk_add_f32 v[4:5], v[8:9], v[0:1]
	s_delay_alu instid0(VALU_DEP_3) | instskip(NEXT) | instid1(VALU_DEP_3)
	v_pk_add_f32 v[2:3], v[16:17], v[2:3]
	v_pk_add_f32 v[0:1], v[24:25], v[10:11]
.LBB0_38:
	s_and_not1_saveexec_b32 s6, s6
	s_cbranch_execz .LBB0_40
; %bb.39:
	v_lshl_add_u32 v26, v6, 2, 0
	v_mov_b64_e32 v[22:23], 0x40800000c0800000
	ds_load_2addr_stride64_b32 v[0:1], v26 offset0:2 offset1:4
	ds_load_2addr_stride64_b32 v[2:3], v26 offset0:14 offset1:16
	;; [unrolled: 1-line block ×12, first 2 shown]
	s_wait_dscnt 0xa
	v_dual_mov_b32 v28, v0 :: v_dual_mov_b32 v29, v2
	s_wait_dscnt 0x9
	v_dual_mov_b32 v2, v1 :: v_dual_mov_b32 v0, v4
	;; [unrolled: 2-line block ×5, first 2 shown]
	s_wait_dscnt 0x3
	v_pk_mul_f32 v[18:19], v[18:19], v[22:23]
	s_wait_dscnt 0x2
	v_dual_mov_b32 v11, v16 :: v_dual_mul_f32 v20, -4.0, v20
	v_mul_f32_e32 v22, 4.0, v21
	v_pk_mul_f32 v[2:3], v[2:3], 4.0 op_sel_hi:[1,0]
	v_pk_mul_f32 v[12:13], v[12:13], 4.0 op_sel_hi:[1,0]
	v_dual_mov_b32 v21, v18 :: v_dual_mov_b32 v23, v19
	s_wait_dscnt 0x0
	v_dual_mov_b32 v18, v24 :: v_dual_mov_b32 v19, v26
	v_mov_b32_e32 v16, v15
	v_pk_fma_f32 v[2:3], v[28:29], -4.0, v[2:3] op_sel_hi:[1,0,1] neg_lo:[0,0,1] neg_hi:[0,0,1]
	v_pk_fma_f32 v[4:5], v[4:5], -4.0, v[12:13] op_sel_hi:[1,0,1] neg_lo:[0,0,1] neg_hi:[0,0,1]
	v_pk_add_f32 v[12:13], v[20:21], v[22:23] neg_lo:[0,1] neg_hi:[0,1]
	v_mov_b32_e32 v26, v25
	s_delay_alu instid0(VALU_DEP_4) | instskip(NEXT) | instid1(VALU_DEP_4)
	v_pk_add_f32 v[0:1], v[0:1], v[2:3]
	v_pk_add_f32 v[2:3], v[10:11], v[4:5]
	s_delay_alu instid0(VALU_DEP_4) | instskip(NEXT) | instid1(VALU_DEP_3)
	v_pk_add_f32 v[10:11], v[18:19], v[12:13]
	v_pk_add_f32 v[4:5], v[8:9], v[0:1]
	s_delay_alu instid0(VALU_DEP_3) | instskip(NEXT) | instid1(VALU_DEP_3)
	v_pk_add_f32 v[2:3], v[16:17], v[2:3]
	v_pk_add_f32 v[0:1], v[26:27], v[10:11]
.LBB0_40:
	s_or_b32 exec_lo, exec_lo, s6
.LBB0_41:
	s_and_not1_saveexec_b32 s1, s1
	s_cbranch_execz .LBB0_43
; %bb.42:
	v_lshl_add_u32 v18, v6, 2, 0
	v_mov_b64_e32 v[20:21], 0x40a0000040800000
	s_mov_b32 s6, 0x40a00000
	ds_load_2addr_stride64_b32 v[0:1], v18 offset1:4
	ds_load_2addr_stride64_b32 v[2:3], v18 offset0:8 offset1:12
	ds_load_2addr_stride64_b32 v[4:5], v18 offset0:16 offset1:20
	;; [unrolled: 1-line block ×8, first 2 shown]
	s_wait_dscnt 0x7
	v_dual_mov_b32 v22, v0 :: v_dual_mov_b32 v23, v3
	s_wait_dscnt 0x6
	v_dual_mov_b32 v0, v1 :: v_dual_mov_b32 v1, v4
	;; [unrolled: 2-line block ×5, first 2 shown]
	v_pk_mul_f32 v[20:21], v[24:25], v[20:21]
	s_wait_dscnt 0x0
	v_mul_f32_e32 v18, 4.0, v18
	v_mul_f32_e32 v24, 0x40a00000, v19
	v_pk_mul_f32 v[0:1], v[0:1], s[6:7] op_sel_hi:[1,0]
	v_pk_mul_f32 v[12:13], v[12:13], s[6:7] op_sel_hi:[1,0]
	v_dual_mov_b32 v19, v20 :: v_dual_mov_b32 v25, v21
	v_dual_mov_b32 v3, v5 :: v_dual_mov_b32 v15, v17
	s_delay_alu instid0(VALU_DEP_4) | instskip(NEXT) | instid1(VALU_DEP_4)
	v_pk_fma_f32 v[0:1], v[22:23], 4.0, v[0:1] op_sel_hi:[1,0,1] neg_lo:[0,0,1] neg_hi:[0,0,1]
	v_pk_fma_f32 v[12:13], v[26:27], 4.0, v[12:13] op_sel_hi:[1,0,1] neg_lo:[0,0,1] neg_hi:[0,0,1]
	s_delay_alu instid0(VALU_DEP_4) | instskip(SKIP_1) | instid1(VALU_DEP_4)
	v_pk_add_f32 v[16:17], v[18:19], v[24:25] neg_lo:[0,1] neg_hi:[0,1]
	v_mov_b32_e32 v9, v11
	v_pk_add_f32 v[4:5], v[2:3], v[0:1]
	s_delay_alu instid0(VALU_DEP_4) | instskip(NEXT) | instid1(VALU_DEP_3)
	v_pk_add_f32 v[2:3], v[14:15], v[12:13]
	v_pk_add_f32 v[0:1], v[8:9], v[16:17]
.LBB0_43:
	s_or_b32 exec_lo, exec_lo, s1
.LBB0_44:
	s_delay_alu instid0(SALU_CYCLE_1) | instskip(SKIP_3) | instid1(SALU_CYCLE_1)
	s_or_b32 exec_lo, exec_lo, s0
	v_lshlrev_b32_e32 v7, 11, v7
	s_lshl_b32 s0, s4, 9
	s_lshl_b32 s1, s5, 7
	s_add_co_i32 s0, s0, s1
	s_barrier_signal -1
	v_add3_u32 v6, s0, v6, v7
	s_barrier_wait -1
	s_delay_alu instid0(VALU_DEP_1)
	v_add_nc_u32_e32 v7, 0x3000, v6
	v_add_nc_u32_e32 v8, 0x6000, v6
	;; [unrolled: 1-line block ×5, first 2 shown]
	s_clause 0x5
	global_store_b32 v6, v4, s[2:3] scale_offset
	global_store_b32 v7, v5, s[2:3] scale_offset
	;; [unrolled: 1-line block ×6, first 2 shown]
	s_endpgm
	.section	.rodata,"a",@progbits
	.p2align	6, 0x0
	.amdhsa_kernel _Z24kernel_128_winograd_BtdBPKfPf
		.amdhsa_group_segment_fixed_size 0
		.amdhsa_private_segment_fixed_size 0
		.amdhsa_kernarg_size 16
		.amdhsa_user_sgpr_count 2
		.amdhsa_user_sgpr_dispatch_ptr 0
		.amdhsa_user_sgpr_queue_ptr 0
		.amdhsa_user_sgpr_kernarg_segment_ptr 1
		.amdhsa_user_sgpr_dispatch_id 0
		.amdhsa_user_sgpr_kernarg_preload_length 0
		.amdhsa_user_sgpr_kernarg_preload_offset 0
		.amdhsa_user_sgpr_private_segment_size 0
		.amdhsa_wavefront_size32 1
		.amdhsa_uses_dynamic_stack 0
		.amdhsa_enable_private_segment 0
		.amdhsa_system_sgpr_workgroup_id_x 1
		.amdhsa_system_sgpr_workgroup_id_y 1
		.amdhsa_system_sgpr_workgroup_id_z 0
		.amdhsa_system_sgpr_workgroup_info 0
		.amdhsa_system_vgpr_workitem_id 1
		.amdhsa_next_free_vgpr 34
		.amdhsa_next_free_sgpr 10
		.amdhsa_named_barrier_count 0
		.amdhsa_reserve_vcc 0
		.amdhsa_float_round_mode_32 0
		.amdhsa_float_round_mode_16_64 0
		.amdhsa_float_denorm_mode_32 3
		.amdhsa_float_denorm_mode_16_64 3
		.amdhsa_fp16_overflow 0
		.amdhsa_memory_ordered 1
		.amdhsa_forward_progress 1
		.amdhsa_inst_pref_size 34
		.amdhsa_round_robin_scheduling 0
		.amdhsa_exception_fp_ieee_invalid_op 0
		.amdhsa_exception_fp_denorm_src 0
		.amdhsa_exception_fp_ieee_div_zero 0
		.amdhsa_exception_fp_ieee_overflow 0
		.amdhsa_exception_fp_ieee_underflow 0
		.amdhsa_exception_fp_ieee_inexact 0
		.amdhsa_exception_int_div_zero 0
	.end_amdhsa_kernel
	.text
.Lfunc_end0:
	.size	_Z24kernel_128_winograd_BtdBPKfPf, .Lfunc_end0-_Z24kernel_128_winograd_BtdBPKfPf
                                        ; -- End function
	.set _Z24kernel_128_winograd_BtdBPKfPf.num_vgpr, 34
	.set _Z24kernel_128_winograd_BtdBPKfPf.num_agpr, 0
	.set _Z24kernel_128_winograd_BtdBPKfPf.numbered_sgpr, 10
	.set _Z24kernel_128_winograd_BtdBPKfPf.num_named_barrier, 0
	.set _Z24kernel_128_winograd_BtdBPKfPf.private_seg_size, 0
	.set _Z24kernel_128_winograd_BtdBPKfPf.uses_vcc, 0
	.set _Z24kernel_128_winograd_BtdBPKfPf.uses_flat_scratch, 0
	.set _Z24kernel_128_winograd_BtdBPKfPf.has_dyn_sized_stack, 0
	.set _Z24kernel_128_winograd_BtdBPKfPf.has_recursion, 0
	.set _Z24kernel_128_winograd_BtdBPKfPf.has_indirect_call, 0
	.section	.AMDGPU.csdata,"",@progbits
; Kernel info:
; codeLenInByte = 4304
; TotalNumSgprs: 10
; NumVgprs: 34
; ScratchSize: 0
; MemoryBound: 0
; FloatMode: 240
; IeeeMode: 1
; LDSByteSize: 0 bytes/workgroup (compile time only)
; SGPRBlocks: 0
; VGPRBlocks: 2
; NumSGPRsForWavesPerEU: 10
; NumVGPRsForWavesPerEU: 34
; NamedBarCnt: 0
; Occupancy: 16
; WaveLimiterHint : 1
; COMPUTE_PGM_RSRC2:SCRATCH_EN: 0
; COMPUTE_PGM_RSRC2:USER_SGPR: 2
; COMPUTE_PGM_RSRC2:TRAP_HANDLER: 0
; COMPUTE_PGM_RSRC2:TGID_X_EN: 1
; COMPUTE_PGM_RSRC2:TGID_Y_EN: 1
; COMPUTE_PGM_RSRC2:TGID_Z_EN: 0
; COMPUTE_PGM_RSRC2:TIDIG_COMP_CNT: 1
	.text
	.protected	_Z24kernel_128_winograd_AtIAPKfS0_S0_Pf ; -- Begin function _Z24kernel_128_winograd_AtIAPKfS0_S0_Pf
	.globl	_Z24kernel_128_winograd_AtIAPKfS0_S0_Pf
	.p2align	8
	.type	_Z24kernel_128_winograd_AtIAPKfS0_S0_Pf,@function
_Z24kernel_128_winograd_AtIAPKfS0_S0_Pf: ; @_Z24kernel_128_winograd_AtIAPKfS0_S0_Pf
; %bb.0:
	s_bfe_u32 s2, ttmp6, 0x40014
	s_lshr_b32 s3, ttmp7, 16
	s_add_co_i32 s2, s2, 1
	s_load_b256 s[4:11], s[0:1], 0x0
	s_wait_xcnt 0x0
	s_mul_i32 s0, s3, s2
	s_bfe_u32 s1, ttmp6, 0x40010
	s_bfe_u32 s12, ttmp6, 0x40008
	s_and_b32 s2, ttmp7, 0xffff
	s_add_co_i32 s1, s1, 1
	s_add_co_i32 s12, s12, s0
	s_bfe_u32 s0, ttmp6, 0x4000c
	v_bfe_u32 v2, v0, 10, 10
	v_and_b32_e32 v0, 0x3ff, v0
	s_mul_i32 s1, s2, s1
	s_bfe_u32 s13, ttmp6, 0x40004
	s_add_co_i32 s0, s0, 1
	s_add_co_i32 s13, s13, s1
	s_and_b32 s1, ttmp6, 15
	s_mul_i32 s0, ttmp9, s0
	s_getreg_b32 s14, hwreg(HW_REG_IB_STS2, 6, 4)
	v_mad_u32_u24 v1, v0, 6, v2
	s_add_co_i32 s1, s1, s0
	s_cmp_eq_u32 s14, 0
	v_mov_b32_e32 v7, 0
	s_cselect_b32 s2, s2, s13
	v_lshlrev_b32_e32 v3, 11, v1
	s_cselect_b32 s1, ttmp9, s1
	s_cselect_b32 s0, s3, s12
	s_lshl_b32 s3, s2, 7
	s_lshl_b32 s12, s1, 9
	s_add_co_i32 s3, s3, s0
	s_delay_alu instid0(SALU_CYCLE_1)
	v_add3_u32 v3, s3, s12, v3
	s_wait_kmcnt 0x0
	global_load_b32 v6, v3, s[4:5] scale_offset
	s_load_b32 s3, s[6:7], s0 offset:0x0 scale_offset
	s_load_b32 s4, s[8:9], s0 offset:0x0 scale_offset
	v_lshl_add_u32 v3, v1, 2, 8
	v_mul_u32_u24_e32 v1, 6, v0
	s_wait_kmcnt 0x0
	v_dual_mov_b32 v4, s3 :: v_dual_mov_b32 v5, s4
	s_mov_b32 s3, exec_lo
	ds_store_b64 v7, v[4:5]
	s_wait_loadcnt 0x0
	ds_store_b32 v3, v6
	s_wait_dscnt 0x0
	s_barrier_signal -1
	s_barrier_wait -1
                                        ; implicit-def: $vgpr4
	v_cmpx_lt_i32_e32 1, v0
	s_xor_b32 s3, exec_lo, s3
	s_cbranch_execz .LBB1_8
; %bb.1:
	s_mov_b32 s4, exec_lo
                                        ; implicit-def: $vgpr4
	v_cmpx_lt_i32_e32 2, v0
	s_xor_b32 s4, exec_lo, s4
	s_cbranch_execz .LBB1_5
; %bb.2:
	v_mov_b32_e32 v4, 0
	s_mov_b32 s5, exec_lo
	v_cmpx_eq_u32_e32 3, v0
	s_cbranch_execz .LBB1_4
; %bb.3:
	v_lshl_add_u32 v8, v2, 2, 8
	s_mov_b32 s6, 0x41000000
	ds_load_2addr_b32 v[4:5], v8 offset0:6 offset1:12
	ds_load_2addr_b32 v[6:7], v8 offset0:18 offset1:24
	ds_load_b32 v8, v8 offset:120
	s_wait_dscnt 0x2
	v_sub_f32_e32 v9, v4, v5
	s_wait_dscnt 0x1
	v_pk_mul_f32 v[4:5], v[6:7], s[6:7] op_sel_hi:[1,0]
	s_delay_alu instid0(VALU_DEP_1) | instskip(NEXT) | instid1(VALU_DEP_1)
	v_add_f32_e32 v4, v9, v4
	v_sub_f32_e32 v4, v4, v5
	s_wait_dscnt 0x0
	s_delay_alu instid0(VALU_DEP_1)
	v_add_f32_e32 v4, v8, v4
.LBB1_4:
	s_or_b32 exec_lo, exec_lo, s5
.LBB1_5:
	s_and_not1_saveexec_b32 s4, s4
	s_cbranch_execz .LBB1_7
; %bb.6:
	v_lshl_add_u32 v6, v2, 2, 8
	ds_load_2addr_b32 v[4:5], v6 offset0:6 offset1:12
	ds_load_2addr_b32 v[6:7], v6 offset0:18 offset1:24
	s_wait_dscnt 0x1
	v_add_f32_e32 v8, v4, v5
	s_wait_dscnt 0x0
	v_pk_mul_f32 v[4:5], v[6:7], 4.0 op_sel_hi:[1,0]
	s_delay_alu instid0(VALU_DEP_1) | instskip(NEXT) | instid1(VALU_DEP_1)
	v_add_f32_e32 v4, v8, v4
	v_add_f32_e32 v4, v4, v5
.LBB1_7:
	s_or_b32 exec_lo, exec_lo, s4
.LBB1_8:
	s_and_not1_saveexec_b32 s3, s3
	s_cbranch_execz .LBB1_14
; %bb.9:
	v_lshl_add_u32 v5, v2, 2, 8
	s_mov_b32 s4, exec_lo
                                        ; implicit-def: $vgpr4
	v_cmpx_lt_i32_e32 0, v0
	s_xor_b32 s4, exec_lo, s4
	s_cbranch_execz .LBB1_11
; %bb.10:
	ds_load_2addr_b32 v[6:7], v5 offset0:6 offset1:12
	ds_load_2addr_b32 v[4:5], v5 offset0:18 offset1:24
	s_wait_dscnt 0x0
	v_pk_add_f32 v[4:5], v[4:5], v[4:5]
	v_sub_f32_e32 v6, v6, v7
	s_delay_alu instid0(VALU_DEP_1) | instskip(NEXT) | instid1(VALU_DEP_1)
	v_add_f32_e32 v4, v6, v4
	v_sub_f32_e32 v4, v4, v5
                                        ; implicit-def: $vgpr5
.LBB1_11:
	s_and_not1_saveexec_b32 s4, s4
	s_cbranch_execz .LBB1_13
; %bb.12:
	ds_load_2addr_b32 v[6:7], v5 offset1:6
	ds_load_2addr_b32 v[8:9], v5 offset0:12 offset1:18
	ds_load_b32 v4, v5 offset:96
	s_wait_dscnt 0x2
	v_add_f32_e32 v5, v6, v7
	s_wait_dscnt 0x1
	s_delay_alu instid0(VALU_DEP_1) | instskip(NEXT) | instid1(VALU_DEP_1)
	v_add_f32_e32 v5, v5, v8
	v_add_f32_e32 v5, v5, v9
	s_wait_dscnt 0x0
	s_delay_alu instid0(VALU_DEP_1)
	v_add_f32_e32 v4, v5, v4
.LBB1_13:
	s_or_b32 exec_lo, exec_lo, s4
.LBB1_14:
	s_delay_alu instid0(SALU_CYCLE_1)
	s_or_b32 exec_lo, exec_lo, s3
	s_barrier_signal -1
	s_barrier_wait -1
	ds_store_b32 v3, v4
	s_wait_dscnt 0x0
	s_barrier_signal -1
	s_barrier_wait -1
	s_mov_b32 s3, exec_lo
	v_cmpx_gt_u32_e32 4, v0
	s_cbranch_execz .LBB1_20
; %bb.15:
	v_cmp_gt_u32_e32 vcc_lo, 2, v0
	s_cmp_lg_u32 s1, 3
	s_cselect_b32 s3, -1, 0
	s_delay_alu instid0(SALU_CYCLE_1) | instskip(NEXT) | instid1(SALU_CYCLE_1)
	s_or_b32 s3, s3, vcc_lo
	s_and_b32 exec_lo, exec_lo, s3
	s_cbranch_execz .LBB1_20
; %bb.16:
	s_mov_b32 s4, 0
	s_mov_b32 s3, exec_lo
                                        ; implicit-def: $vgpr4
                                        ; implicit-def: $vgpr3
	v_cmpx_lt_i32_e32 1, v2
	s_xor_b32 s3, exec_lo, s3
	s_cbranch_execnz .LBB1_21
; %bb.17:
	s_and_not1_saveexec_b32 s3, s3
	s_cbranch_execnz .LBB1_33
.LBB1_18:
	s_or_b32 exec_lo, exec_lo, s3
	s_delay_alu instid0(SALU_CYCLE_1)
	s_and_b32 exec_lo, exec_lo, s4
	s_cbranch_execz .LBB1_20
.LBB1_19:
	v_mov_b32_e32 v1, 0
	s_lshl_b32 s1, s1, 13
	s_lshl_b32 s2, s2, 9
	v_lshl_add_u32 v0, v0, 11, s1
	v_add3_u32 v2, s2, s0, v4
	ds_load_b32 v1, v1
	v_add3_u32 v0, v0, v2, 0x800
	s_wait_dscnt 0x0
	v_add_f32_e32 v1, v1, v3
	s_delay_alu instid0(VALU_DEP_1)
	v_max_num_f32_e32 v1, 0, v1
	global_store_b32 v0, v1, s[10:11] scale_offset
.LBB1_20:
	s_endpgm
.LBB1_21:
	s_mov_b32 s5, 0
	s_mov_b32 s4, exec_lo
                                        ; implicit-def: $vgpr3
	v_cmpx_lt_i32_e32 2, v2
	s_xor_b32 s4, exec_lo, s4
	s_cbranch_execz .LBB1_28
; %bb.22:
	s_mov_b32 s6, 0
	s_mov_b32 s5, exec_lo
                                        ; implicit-def: $vgpr3
	v_cmpx_eq_u32_e32 3, v2
	s_cbranch_execz .LBB1_27
; %bb.23:
	s_cmp_lg_u32 s2, 3
	s_cbranch_scc0 .LBB1_25
; %bb.24:
	v_lshl_add_u32 v1, v1, 2, 8
	s_mov_b32 s6, 0x41000000
	ds_load_2addr_b32 v[2:3], v1 offset0:3 offset1:4
	ds_load_2addr_b32 v[4:5], v1 offset0:1 offset1:2
	v_mov_b32_e32 v6, 0
	ds_load_b32 v1, v1 offset:20
	s_wait_dscnt 0x2
	v_pk_mul_f32 v[2:3], v[2:3], s[6:7] op_sel_hi:[1,0]
	s_wait_dscnt 0x1
	v_sub_f32_e32 v4, v4, v5
	ds_load_b32 v6, v6 offset:4
	s_mov_b32 s6, -1
	v_add_f32_e32 v2, v4, v2
	s_delay_alu instid0(VALU_DEP_1) | instskip(SKIP_1) | instid1(VALU_DEP_1)
	v_sub_f32_e32 v2, v2, v3
	s_wait_dscnt 0x1
	v_add_f32_e32 v1, v1, v2
	s_wait_dscnt 0x0
	s_delay_alu instid0(VALU_DEP_1)
	v_mul_f32_e32 v3, v6, v1
	s_branch .LBB1_26
.LBB1_25:
                                        ; implicit-def: $vgpr3
.LBB1_26:
	s_and_b32 s6, s6, exec_lo
.LBB1_27:
	s_or_b32 exec_lo, exec_lo, s5
	s_delay_alu instid0(SALU_CYCLE_1)
	s_and_b32 s5, s6, exec_lo
                                        ; implicit-def: $vgpr1
.LBB1_28:
	s_or_saveexec_b32 s4, s4
	v_mov_b32_e32 v4, 0x200
	s_xor_b32 exec_lo, exec_lo, s4
	s_cbranch_execz .LBB1_32
; %bb.29:
	s_cmp_lg_u32 s2, 3
	s_mov_b32 s6, s5
                                        ; implicit-def: $vgpr3
	s_cbranch_scc0 .LBB1_31
; %bb.30:
	v_lshl_add_u32 v1, v1, 2, 8
	s_or_b32 s6, s5, exec_lo
	ds_load_2addr_b32 v[2:3], v1 offset0:3 offset1:4
	ds_load_2addr_b32 v[4:5], v1 offset0:1 offset1:2
	v_mov_b32_e32 v1, 0
	s_wait_dscnt 0x1
	v_pk_mul_f32 v[2:3], v[2:3], 4.0 op_sel_hi:[1,0]
	s_wait_dscnt 0x0
	v_add_f32_e32 v4, v4, v5
	ds_load_b32 v1, v1 offset:4
	v_add_f32_e32 v2, v4, v2
	s_delay_alu instid0(VALU_DEP_1) | instskip(SKIP_1) | instid1(VALU_DEP_1)
	v_add_f32_e32 v2, v2, v3
	s_wait_dscnt 0x0
	v_mul_f32_e32 v3, v1, v2
.LBB1_31:
	v_mov_b32_e32 v4, 0x180
	s_and_not1_b32 s5, s5, exec_lo
	s_and_b32 s6, s6, exec_lo
	s_delay_alu instid0(SALU_CYCLE_1)
	s_or_b32 s5, s5, s6
.LBB1_32:
	s_or_b32 exec_lo, exec_lo, s4
	s_delay_alu instid0(SALU_CYCLE_1)
	s_and_b32 s4, s5, exec_lo
                                        ; implicit-def: $vgpr2
                                        ; implicit-def: $vgpr1
	s_and_not1_saveexec_b32 s3, s3
	s_cbranch_execz .LBB1_18
.LBB1_33:
	v_lshl_add_u32 v1, v1, 2, 8
	s_mov_b32 s5, exec_lo
                                        ; implicit-def: $vgpr3
	v_cmpx_lt_i32_e32 0, v2
	s_xor_b32 s5, exec_lo, s5
	s_cbranch_execz .LBB1_35
; %bb.34:
	ds_load_2addr_b32 v[2:3], v1 offset0:3 offset1:4
	ds_load_2addr_b32 v[4:5], v1 offset0:1 offset1:2
	v_mov_b32_e32 v1, 0
	s_wait_dscnt 0x1
	v_pk_add_f32 v[2:3], v[2:3], v[2:3]
	s_wait_dscnt 0x0
	v_sub_f32_e32 v4, v4, v5
	ds_load_b32 v1, v1 offset:4
	v_add_f32_e32 v2, v4, v2
	s_delay_alu instid0(VALU_DEP_1) | instskip(SKIP_1) | instid1(VALU_DEP_1)
	v_sub_f32_e32 v2, v2, v3
	s_wait_dscnt 0x0
	v_mul_f32_e32 v3, v1, v2
                                        ; implicit-def: $vgpr1
.LBB1_35:
	s_or_saveexec_b32 s5, s5
	v_mov_b32_e32 v4, 0x100
	s_xor_b32 exec_lo, exec_lo, s5
	s_cbranch_execz .LBB1_37
; %bb.36:
	ds_load_2addr_b32 v[2:3], v1 offset1:1
	ds_load_2addr_b32 v[4:5], v1 offset0:2 offset1:3
	s_wait_dscnt 0x1
	v_dual_mov_b32 v6, 0 :: v_dual_add_f32 v2, v2, v3
	ds_load_b32 v1, v1 offset:16
	ds_load_b32 v6, v6 offset:4
	s_wait_dscnt 0x2
	v_add_f32_e32 v2, v2, v4
	v_mov_b32_e32 v4, 0x80
	s_delay_alu instid0(VALU_DEP_2) | instskip(SKIP_1) | instid1(VALU_DEP_1)
	v_add_f32_e32 v2, v2, v5
	s_wait_dscnt 0x1
	v_add_f32_e32 v1, v2, v1
	s_wait_dscnt 0x0
	s_delay_alu instid0(VALU_DEP_1)
	v_mul_f32_e32 v3, v6, v1
.LBB1_37:
	s_or_b32 exec_lo, exec_lo, s5
	s_delay_alu instid0(SALU_CYCLE_1) | instskip(SKIP_1) | instid1(SALU_CYCLE_1)
	s_or_b32 s4, s4, exec_lo
	s_or_b32 exec_lo, exec_lo, s3
	s_and_b32 exec_lo, exec_lo, s4
	s_cbranch_execnz .LBB1_19
	s_branch .LBB1_20
	.section	.rodata,"a",@progbits
	.p2align	6, 0x0
	.amdhsa_kernel _Z24kernel_128_winograd_AtIAPKfS0_S0_Pf
		.amdhsa_group_segment_fixed_size 8
		.amdhsa_private_segment_fixed_size 0
		.amdhsa_kernarg_size 32
		.amdhsa_user_sgpr_count 2
		.amdhsa_user_sgpr_dispatch_ptr 0
		.amdhsa_user_sgpr_queue_ptr 0
		.amdhsa_user_sgpr_kernarg_segment_ptr 1
		.amdhsa_user_sgpr_dispatch_id 0
		.amdhsa_user_sgpr_kernarg_preload_length 0
		.amdhsa_user_sgpr_kernarg_preload_offset 0
		.amdhsa_user_sgpr_private_segment_size 0
		.amdhsa_wavefront_size32 1
		.amdhsa_uses_dynamic_stack 0
		.amdhsa_enable_private_segment 0
		.amdhsa_system_sgpr_workgroup_id_x 1
		.amdhsa_system_sgpr_workgroup_id_y 1
		.amdhsa_system_sgpr_workgroup_id_z 1
		.amdhsa_system_sgpr_workgroup_info 0
		.amdhsa_system_vgpr_workitem_id 1
		.amdhsa_next_free_vgpr 10
		.amdhsa_next_free_sgpr 15
		.amdhsa_named_barrier_count 0
		.amdhsa_reserve_vcc 1
		.amdhsa_float_round_mode_32 0
		.amdhsa_float_round_mode_16_64 0
		.amdhsa_float_denorm_mode_32 3
		.amdhsa_float_denorm_mode_16_64 3
		.amdhsa_fp16_overflow 0
		.amdhsa_memory_ordered 1
		.amdhsa_forward_progress 1
		.amdhsa_inst_pref_size 11
		.amdhsa_round_robin_scheduling 0
		.amdhsa_exception_fp_ieee_invalid_op 0
		.amdhsa_exception_fp_denorm_src 0
		.amdhsa_exception_fp_ieee_div_zero 0
		.amdhsa_exception_fp_ieee_overflow 0
		.amdhsa_exception_fp_ieee_underflow 0
		.amdhsa_exception_fp_ieee_inexact 0
		.amdhsa_exception_int_div_zero 0
	.end_amdhsa_kernel
	.text
.Lfunc_end1:
	.size	_Z24kernel_128_winograd_AtIAPKfS0_S0_Pf, .Lfunc_end1-_Z24kernel_128_winograd_AtIAPKfS0_S0_Pf
                                        ; -- End function
	.set _Z24kernel_128_winograd_AtIAPKfS0_S0_Pf.num_vgpr, 10
	.set _Z24kernel_128_winograd_AtIAPKfS0_S0_Pf.num_agpr, 0
	.set _Z24kernel_128_winograd_AtIAPKfS0_S0_Pf.numbered_sgpr, 15
	.set _Z24kernel_128_winograd_AtIAPKfS0_S0_Pf.num_named_barrier, 0
	.set _Z24kernel_128_winograd_AtIAPKfS0_S0_Pf.private_seg_size, 0
	.set _Z24kernel_128_winograd_AtIAPKfS0_S0_Pf.uses_vcc, 1
	.set _Z24kernel_128_winograd_AtIAPKfS0_S0_Pf.uses_flat_scratch, 0
	.set _Z24kernel_128_winograd_AtIAPKfS0_S0_Pf.has_dyn_sized_stack, 0
	.set _Z24kernel_128_winograd_AtIAPKfS0_S0_Pf.has_recursion, 0
	.set _Z24kernel_128_winograd_AtIAPKfS0_S0_Pf.has_indirect_call, 0
	.section	.AMDGPU.csdata,"",@progbits
; Kernel info:
; codeLenInByte = 1380
; TotalNumSgprs: 17
; NumVgprs: 10
; ScratchSize: 0
; MemoryBound: 0
; FloatMode: 240
; IeeeMode: 1
; LDSByteSize: 8 bytes/workgroup (compile time only)
; SGPRBlocks: 0
; VGPRBlocks: 0
; NumSGPRsForWavesPerEU: 17
; NumVGPRsForWavesPerEU: 10
; NamedBarCnt: 0
; Occupancy: 16
; WaveLimiterHint : 0
; COMPUTE_PGM_RSRC2:SCRATCH_EN: 0
; COMPUTE_PGM_RSRC2:USER_SGPR: 2
; COMPUTE_PGM_RSRC2:TRAP_HANDLER: 0
; COMPUTE_PGM_RSRC2:TGID_X_EN: 1
; COMPUTE_PGM_RSRC2:TGID_Y_EN: 1
; COMPUTE_PGM_RSRC2:TGID_Z_EN: 1
; COMPUTE_PGM_RSRC2:TIDIG_COMP_CNT: 1
	.text
	.protected	_Z27kernel_128_OuterProduct_128PKfS0_Pf ; -- Begin function _Z27kernel_128_OuterProduct_128PKfS0_Pf
	.globl	_Z27kernel_128_OuterProduct_128PKfS0_Pf
	.p2align	8
	.type	_Z27kernel_128_OuterProduct_128PKfS0_Pf,@function
_Z27kernel_128_OuterProduct_128PKfS0_Pf: ; @_Z27kernel_128_OuterProduct_128PKfS0_Pf
; %bb.0:
	s_bfe_u32 s2, ttmp6, 0x4000c
	s_load_b128 s[4:7], s[0:1], 0x0
	s_add_co_i32 s2, s2, 1
	s_bfe_u32 s8, ttmp6, 0x40010
	s_and_b32 s3, ttmp6, 15
	s_mul_i32 s2, ttmp9, s2
	s_add_co_i32 s8, s8, 1
	v_and_b32_e32 v3, 0x3ff, v0
	v_bfe_u32 v2, v0, 10, 10
	s_add_co_i32 s3, s3, s2
	s_mul_i32 s2, ttmp7, s8
	s_bfe_u32 s8, ttmp6, 0x40004
	s_getreg_b32 s9, hwreg(HW_REG_IB_STS2, 6, 4)
	s_add_co_i32 s8, s8, s2
	s_cmp_eq_u32 s9, 0
	v_lshl_add_u32 v1, v2, 7, v3
	s_cselect_b32 s2, ttmp9, s3
	s_cselect_b32 s3, ttmp7, s8
	s_lshl_b32 s8, s2, 11
	s_lshl_b32 s3, s3, 10
	v_lshl_add_u32 v4, s2, 14, v1
	v_add3_u32 v0, s8, s3, v1
	s_wait_kmcnt 0x0
	global_load_b32 v5, v0, s[4:5] scale_offset
	s_clause 0x3
	global_load_b32 v6, v4, s[6:7] scale_offset
	global_load_b32 v7, v4, s[6:7] offset:4096 scale_offset
	global_load_b32 v8, v4, s[6:7] offset:8192 scale_offset
	;; [unrolled: 1-line block ×3, first 2 shown]
	v_lshl_add_u32 v1, v1, 2, 0
	v_lshl_add_u32 v3, v3, 2, 0
	;; [unrolled: 1-line block ×3, first 2 shown]
	v_mov_b32_e32 v10, 0
	s_load_b64 s[0:1], s[0:1], 0x10
	s_wait_loadcnt 0x3
	ds_store_2addr_stride64_b32 v1, v5, v6 offset1:16
	s_wait_loadcnt 0x1
	ds_store_2addr_stride64_b32 v1, v7, v8 offset0:32 offset1:48
	s_wait_loadcnt 0x0
	ds_store_2addr_stride64_b32 v1, v9, v10 offset0:64 offset1:144
	s_wait_dscnt 0x0
	s_barrier_signal -1
	s_barrier_wait -1
	ds_load_2addr_stride64_b32 v[6:7], v3 offset0:16 offset1:18
	ds_load_2addr_b32 v[8:9], v2 offset1:1
	ds_load_2addr_b32 v[10:11], v2 offset0:2 offset1:3
	ds_load_2addr_stride64_b32 v[12:13], v3 offset0:20 offset1:22
	ds_load_2addr_stride64_b32 v[14:15], v3 offset0:24 offset1:26
	ds_load_2addr_b32 v[16:17], v2 offset0:4 offset1:5
	ds_load_b32 v5, v1 offset:36864
	s_wait_dscnt 0x5
	v_fma_f32 v20, v8, v6, 0
	s_delay_alu instid0(VALU_DEP_1) | instskip(SKIP_4) | instid1(VALU_DEP_1)
	v_fmac_f32_e32 v20, v9, v7
	ds_load_2addr_b32 v[6:7], v2 offset0:6 offset1:7
	ds_load_2addr_stride64_b32 v[8:9], v3 offset0:28 offset1:30
	s_wait_dscnt 0x5
	v_fmac_f32_e32 v20, v10, v12
	v_fmac_f32_e32 v20, v11, v13
	ds_load_2addr_b32 v[10:11], v2 offset0:8 offset1:9
	ds_load_2addr_stride64_b32 v[12:13], v3 offset0:32 offset1:34
	s_wait_dscnt 0x5
	v_fmac_f32_e32 v20, v16, v14
	s_delay_alu instid0(VALU_DEP_1)
	v_fmac_f32_e32 v20, v17, v15
	ds_load_2addr_stride64_b32 v[14:15], v3 offset0:36 offset1:38
	ds_load_2addr_b32 v[16:17], v2 offset0:10 offset1:11
	ds_load_2addr_b32 v[18:19], v2 offset0:12 offset1:13
	s_wait_dscnt 0x5
	v_fmac_f32_e32 v20, v6, v8
	s_delay_alu instid0(VALU_DEP_1) | instskip(SKIP_3) | instid1(VALU_DEP_1)
	v_fmac_f32_e32 v20, v7, v9
	ds_load_2addr_stride64_b32 v[6:7], v3 offset0:40 offset1:42
	s_wait_dscnt 0x4
	v_fmac_f32_e32 v20, v10, v12
	v_fmac_f32_e32 v20, v11, v13
	ds_load_2addr_b32 v[8:9], v2 offset0:14 offset1:15
	ds_load_2addr_stride64_b32 v[10:11], v3 offset0:44 offset1:46
	s_wait_dscnt 0x4
	v_fmac_f32_e32 v20, v16, v14
	s_delay_alu instid0(VALU_DEP_1) | instskip(SKIP_4) | instid1(VALU_DEP_1)
	v_fmac_f32_e32 v20, v17, v15
	ds_load_2addr_b32 v[12:13], v2 offset0:16 offset1:17
	ds_load_2addr_stride64_b32 v[14:15], v3 offset0:48 offset1:50
	s_wait_dscnt 0x4
	v_fmac_f32_e32 v20, v18, v6
	v_fmac_f32_e32 v20, v19, v7
	ds_load_2addr_stride64_b32 v[6:7], v3 offset0:52 offset1:54
	ds_load_2addr_b32 v[16:17], v2 offset0:18 offset1:19
	ds_load_2addr_b32 v[18:19], v2 offset0:20 offset1:21
	s_wait_dscnt 0x5
	v_fmac_f32_e32 v20, v8, v10
	s_delay_alu instid0(VALU_DEP_1) | instskip(SKIP_3) | instid1(VALU_DEP_1)
	v_fmac_f32_e32 v20, v9, v11
	ds_load_2addr_stride64_b32 v[8:9], v3 offset0:56 offset1:58
	s_wait_dscnt 0x4
	v_fmac_f32_e32 v20, v12, v14
	v_fmac_f32_e32 v20, v13, v15
	ds_load_2addr_b32 v[10:11], v2 offset0:22 offset1:23
	ds_load_2addr_stride64_b32 v[12:13], v3 offset0:60 offset1:62
	s_wait_dscnt 0x4
	v_fmac_f32_e32 v20, v16, v6
	s_delay_alu instid0(VALU_DEP_1) | instskip(SKIP_4) | instid1(VALU_DEP_1)
	v_fmac_f32_e32 v20, v17, v7
	ds_load_2addr_b32 v[6:7], v2 offset0:24 offset1:25
	ds_load_2addr_stride64_b32 v[14:15], v3 offset0:64 offset1:66
	s_wait_dscnt 0x4
	v_fmac_f32_e32 v20, v18, v8
	v_fmac_f32_e32 v20, v19, v9
	ds_load_2addr_stride64_b32 v[8:9], v3 offset0:68 offset1:70
	ds_load_2addr_b32 v[16:17], v2 offset0:26 offset1:27
	ds_load_2addr_b32 v[18:19], v2 offset0:28 offset1:29
	s_wait_dscnt 0x5
	v_fmac_f32_e32 v20, v10, v12
	s_delay_alu instid0(VALU_DEP_1) | instskip(SKIP_3) | instid1(VALU_DEP_1)
	v_fmac_f32_e32 v20, v11, v13
	ds_load_2addr_stride64_b32 v[10:11], v3 offset0:72 offset1:74
	s_wait_dscnt 0x4
	v_fmac_f32_e32 v20, v6, v14
	v_fmac_f32_e32 v20, v7, v15
	ds_load_2addr_b32 v[6:7], v2 offset0:30 offset1:31
	ds_load_2addr_stride64_b32 v[12:13], v3 offset0:76 offset1:78
	s_wait_dscnt 0x4
	v_fmac_f32_e32 v20, v16, v8
	s_delay_alu instid0(VALU_DEP_1) | instskip(SKIP_1) | instid1(VALU_DEP_1)
	v_fmac_f32_e32 v20, v17, v9
	s_wait_dscnt 0x2
	v_fmac_f32_e32 v20, v18, v10
	s_delay_alu instid0(VALU_DEP_1) | instskip(SKIP_1) | instid1(VALU_DEP_1)
	v_fmac_f32_e32 v20, v19, v11
	s_wait_dscnt 0x0
	v_fmac_f32_e32 v20, v6, v12
	s_delay_alu instid0(VALU_DEP_1) | instskip(NEXT) | instid1(VALU_DEP_1)
	v_fmac_f32_e32 v20, v7, v13
	v_add_f32_e32 v5, v20, v5
	ds_store_b32 v1, v5 offset:36864
	s_wait_dscnt 0x0
	s_barrier_signal -1
	s_barrier_wait -1
	s_clause 0x3
	global_load_b32 v5, v4, s[6:7] offset:16384 scale_offset
	global_load_b32 v6, v4, s[6:7] offset:20480 scale_offset
	;; [unrolled: 1-line block ×4, first 2 shown]
	s_wait_loadcnt 0x2
	ds_store_2addr_stride64_b32 v1, v5, v6 offset0:16 offset1:32
	s_wait_loadcnt 0x0
	ds_store_2addr_stride64_b32 v1, v7, v8 offset0:48 offset1:64
	s_wait_dscnt 0x0
	s_barrier_signal -1
	s_barrier_wait -1
	ds_load_2addr_stride64_b32 v[6:7], v3 offset0:16 offset1:18
	ds_load_2addr_b32 v[8:9], v2 offset0:32 offset1:33
	ds_load_2addr_b32 v[10:11], v2 offset0:34 offset1:35
	ds_load_2addr_stride64_b32 v[12:13], v3 offset0:20 offset1:22
	ds_load_2addr_stride64_b32 v[14:15], v3 offset0:24 offset1:26
	ds_load_2addr_b32 v[16:17], v2 offset0:36 offset1:37
	ds_load_b32 v5, v1 offset:36864
	s_wait_dscnt 0x5
	v_fma_f32 v20, v8, v6, 0
	s_delay_alu instid0(VALU_DEP_1) | instskip(SKIP_4) | instid1(VALU_DEP_1)
	v_fmac_f32_e32 v20, v9, v7
	ds_load_2addr_b32 v[6:7], v2 offset0:38 offset1:39
	ds_load_2addr_stride64_b32 v[8:9], v3 offset0:28 offset1:30
	s_wait_dscnt 0x5
	v_fmac_f32_e32 v20, v10, v12
	v_fmac_f32_e32 v20, v11, v13
	ds_load_2addr_b32 v[10:11], v2 offset0:40 offset1:41
	ds_load_2addr_stride64_b32 v[12:13], v3 offset0:32 offset1:34
	s_wait_dscnt 0x5
	v_fmac_f32_e32 v20, v16, v14
	s_delay_alu instid0(VALU_DEP_1)
	v_fmac_f32_e32 v20, v17, v15
	ds_load_2addr_stride64_b32 v[14:15], v3 offset0:36 offset1:38
	ds_load_2addr_b32 v[16:17], v2 offset0:42 offset1:43
	ds_load_2addr_b32 v[18:19], v2 offset0:44 offset1:45
	s_wait_dscnt 0x5
	v_fmac_f32_e32 v20, v6, v8
	s_delay_alu instid0(VALU_DEP_1) | instskip(SKIP_3) | instid1(VALU_DEP_1)
	v_fmac_f32_e32 v20, v7, v9
	ds_load_2addr_stride64_b32 v[6:7], v3 offset0:40 offset1:42
	s_wait_dscnt 0x4
	v_fmac_f32_e32 v20, v10, v12
	v_fmac_f32_e32 v20, v11, v13
	ds_load_2addr_b32 v[8:9], v2 offset0:46 offset1:47
	ds_load_2addr_stride64_b32 v[10:11], v3 offset0:44 offset1:46
	s_wait_dscnt 0x4
	v_fmac_f32_e32 v20, v16, v14
	s_delay_alu instid0(VALU_DEP_1) | instskip(SKIP_4) | instid1(VALU_DEP_1)
	v_fmac_f32_e32 v20, v17, v15
	ds_load_2addr_b32 v[12:13], v2 offset0:48 offset1:49
	ds_load_2addr_stride64_b32 v[14:15], v3 offset0:48 offset1:50
	s_wait_dscnt 0x4
	v_fmac_f32_e32 v20, v18, v6
	v_fmac_f32_e32 v20, v19, v7
	ds_load_2addr_stride64_b32 v[6:7], v3 offset0:52 offset1:54
	ds_load_2addr_b32 v[16:17], v2 offset0:50 offset1:51
	ds_load_2addr_b32 v[18:19], v2 offset0:52 offset1:53
	s_wait_dscnt 0x5
	v_fmac_f32_e32 v20, v8, v10
	s_delay_alu instid0(VALU_DEP_1) | instskip(SKIP_3) | instid1(VALU_DEP_1)
	v_fmac_f32_e32 v20, v9, v11
	ds_load_2addr_stride64_b32 v[8:9], v3 offset0:56 offset1:58
	s_wait_dscnt 0x4
	v_fmac_f32_e32 v20, v12, v14
	v_fmac_f32_e32 v20, v13, v15
	ds_load_2addr_b32 v[10:11], v2 offset0:54 offset1:55
	ds_load_2addr_stride64_b32 v[12:13], v3 offset0:60 offset1:62
	s_wait_dscnt 0x4
	v_fmac_f32_e32 v20, v16, v6
	s_delay_alu instid0(VALU_DEP_1) | instskip(SKIP_4) | instid1(VALU_DEP_1)
	v_fmac_f32_e32 v20, v17, v7
	ds_load_2addr_b32 v[6:7], v2 offset0:56 offset1:57
	ds_load_2addr_stride64_b32 v[14:15], v3 offset0:64 offset1:66
	s_wait_dscnt 0x4
	v_fmac_f32_e32 v20, v18, v8
	v_fmac_f32_e32 v20, v19, v9
	ds_load_2addr_stride64_b32 v[8:9], v3 offset0:68 offset1:70
	ds_load_2addr_b32 v[16:17], v2 offset0:58 offset1:59
	ds_load_2addr_b32 v[18:19], v2 offset0:60 offset1:61
	s_wait_dscnt 0x5
	v_fmac_f32_e32 v20, v10, v12
	s_delay_alu instid0(VALU_DEP_1) | instskip(SKIP_3) | instid1(VALU_DEP_1)
	v_fmac_f32_e32 v20, v11, v13
	ds_load_2addr_stride64_b32 v[10:11], v3 offset0:72 offset1:74
	s_wait_dscnt 0x4
	v_fmac_f32_e32 v20, v6, v14
	v_fmac_f32_e32 v20, v7, v15
	ds_load_2addr_b32 v[6:7], v2 offset0:62 offset1:63
	ds_load_2addr_stride64_b32 v[12:13], v3 offset0:76 offset1:78
	s_wait_dscnt 0x4
	v_fmac_f32_e32 v20, v16, v8
	s_delay_alu instid0(VALU_DEP_1) | instskip(SKIP_1) | instid1(VALU_DEP_1)
	v_fmac_f32_e32 v20, v17, v9
	s_wait_dscnt 0x2
	v_fmac_f32_e32 v20, v18, v10
	s_delay_alu instid0(VALU_DEP_1) | instskip(SKIP_1) | instid1(VALU_DEP_1)
	v_fmac_f32_e32 v20, v19, v11
	s_wait_dscnt 0x0
	v_fmac_f32_e32 v20, v6, v12
	s_delay_alu instid0(VALU_DEP_1) | instskip(NEXT) | instid1(VALU_DEP_1)
	v_fmac_f32_e32 v20, v7, v13
	v_add_f32_e32 v5, v20, v5
	ds_store_b32 v1, v5 offset:36864
	s_wait_dscnt 0x0
	s_barrier_signal -1
	s_barrier_wait -1
	s_clause 0x3
	global_load_b32 v5, v4, s[6:7] offset:32768 scale_offset
	global_load_b32 v6, v4, s[6:7] offset:36864 scale_offset
	;; [unrolled: 1-line block ×4, first 2 shown]
	s_wait_loadcnt 0x2
	ds_store_2addr_stride64_b32 v1, v5, v6 offset0:16 offset1:32
	s_wait_loadcnt 0x0
	ds_store_2addr_stride64_b32 v1, v7, v8 offset0:48 offset1:64
	s_wait_dscnt 0x0
	s_barrier_signal -1
	s_barrier_wait -1
	ds_load_2addr_stride64_b32 v[6:7], v3 offset0:16 offset1:18
	ds_load_2addr_b32 v[8:9], v2 offset0:64 offset1:65
	ds_load_2addr_b32 v[10:11], v2 offset0:66 offset1:67
	ds_load_2addr_stride64_b32 v[12:13], v3 offset0:20 offset1:22
	ds_load_2addr_stride64_b32 v[14:15], v3 offset0:24 offset1:26
	ds_load_2addr_b32 v[16:17], v2 offset0:68 offset1:69
	ds_load_b32 v5, v1 offset:36864
	s_wait_dscnt 0x5
	v_fma_f32 v20, v8, v6, 0
	s_delay_alu instid0(VALU_DEP_1) | instskip(SKIP_4) | instid1(VALU_DEP_1)
	v_fmac_f32_e32 v20, v9, v7
	ds_load_2addr_b32 v[6:7], v2 offset0:70 offset1:71
	ds_load_2addr_stride64_b32 v[8:9], v3 offset0:28 offset1:30
	s_wait_dscnt 0x5
	v_fmac_f32_e32 v20, v10, v12
	v_fmac_f32_e32 v20, v11, v13
	ds_load_2addr_b32 v[10:11], v2 offset0:72 offset1:73
	ds_load_2addr_stride64_b32 v[12:13], v3 offset0:32 offset1:34
	s_wait_dscnt 0x5
	v_fmac_f32_e32 v20, v16, v14
	s_delay_alu instid0(VALU_DEP_1)
	v_fmac_f32_e32 v20, v17, v15
	ds_load_2addr_stride64_b32 v[14:15], v3 offset0:36 offset1:38
	ds_load_2addr_b32 v[16:17], v2 offset0:74 offset1:75
	ds_load_2addr_b32 v[18:19], v2 offset0:76 offset1:77
	s_wait_dscnt 0x5
	v_fmac_f32_e32 v20, v6, v8
	s_delay_alu instid0(VALU_DEP_1) | instskip(SKIP_3) | instid1(VALU_DEP_1)
	v_fmac_f32_e32 v20, v7, v9
	ds_load_2addr_stride64_b32 v[6:7], v3 offset0:40 offset1:42
	s_wait_dscnt 0x4
	v_fmac_f32_e32 v20, v10, v12
	v_fmac_f32_e32 v20, v11, v13
	ds_load_2addr_b32 v[8:9], v2 offset0:78 offset1:79
	ds_load_2addr_stride64_b32 v[10:11], v3 offset0:44 offset1:46
	s_wait_dscnt 0x4
	v_fmac_f32_e32 v20, v16, v14
	s_delay_alu instid0(VALU_DEP_1) | instskip(SKIP_4) | instid1(VALU_DEP_1)
	v_fmac_f32_e32 v20, v17, v15
	ds_load_2addr_b32 v[12:13], v2 offset0:80 offset1:81
	ds_load_2addr_stride64_b32 v[14:15], v3 offset0:48 offset1:50
	s_wait_dscnt 0x4
	v_fmac_f32_e32 v20, v18, v6
	v_fmac_f32_e32 v20, v19, v7
	ds_load_2addr_stride64_b32 v[6:7], v3 offset0:52 offset1:54
	ds_load_2addr_b32 v[16:17], v2 offset0:82 offset1:83
	ds_load_2addr_b32 v[18:19], v2 offset0:84 offset1:85
	s_wait_dscnt 0x5
	v_fmac_f32_e32 v20, v8, v10
	s_delay_alu instid0(VALU_DEP_1) | instskip(SKIP_3) | instid1(VALU_DEP_1)
	v_fmac_f32_e32 v20, v9, v11
	ds_load_2addr_stride64_b32 v[8:9], v3 offset0:56 offset1:58
	s_wait_dscnt 0x4
	v_fmac_f32_e32 v20, v12, v14
	v_fmac_f32_e32 v20, v13, v15
	ds_load_2addr_b32 v[10:11], v2 offset0:86 offset1:87
	ds_load_2addr_stride64_b32 v[12:13], v3 offset0:60 offset1:62
	s_wait_dscnt 0x4
	v_fmac_f32_e32 v20, v16, v6
	s_delay_alu instid0(VALU_DEP_1) | instskip(SKIP_4) | instid1(VALU_DEP_1)
	v_fmac_f32_e32 v20, v17, v7
	ds_load_2addr_b32 v[6:7], v2 offset0:88 offset1:89
	ds_load_2addr_stride64_b32 v[14:15], v3 offset0:64 offset1:66
	s_wait_dscnt 0x4
	v_fmac_f32_e32 v20, v18, v8
	v_fmac_f32_e32 v20, v19, v9
	ds_load_2addr_stride64_b32 v[8:9], v3 offset0:68 offset1:70
	ds_load_2addr_b32 v[16:17], v2 offset0:90 offset1:91
	ds_load_2addr_b32 v[18:19], v2 offset0:92 offset1:93
	s_wait_dscnt 0x5
	v_fmac_f32_e32 v20, v10, v12
	s_delay_alu instid0(VALU_DEP_1) | instskip(SKIP_3) | instid1(VALU_DEP_1)
	v_fmac_f32_e32 v20, v11, v13
	ds_load_2addr_stride64_b32 v[10:11], v3 offset0:72 offset1:74
	s_wait_dscnt 0x4
	v_fmac_f32_e32 v20, v6, v14
	v_fmac_f32_e32 v20, v7, v15
	ds_load_2addr_b32 v[6:7], v2 offset0:94 offset1:95
	ds_load_2addr_stride64_b32 v[12:13], v3 offset0:76 offset1:78
	s_wait_dscnt 0x4
	v_fmac_f32_e32 v20, v16, v8
	s_delay_alu instid0(VALU_DEP_1) | instskip(SKIP_1) | instid1(VALU_DEP_1)
	v_fmac_f32_e32 v20, v17, v9
	s_wait_dscnt 0x2
	v_fmac_f32_e32 v20, v18, v10
	s_delay_alu instid0(VALU_DEP_1) | instskip(SKIP_1) | instid1(VALU_DEP_1)
	v_fmac_f32_e32 v20, v19, v11
	s_wait_dscnt 0x0
	v_fmac_f32_e32 v20, v6, v12
	s_delay_alu instid0(VALU_DEP_1) | instskip(NEXT) | instid1(VALU_DEP_1)
	v_fmac_f32_e32 v20, v7, v13
	v_add_f32_e32 v5, v20, v5
	ds_store_b32 v1, v5 offset:36864
	s_wait_dscnt 0x0
	s_barrier_signal -1
	s_barrier_wait -1
	s_clause 0x3
	global_load_b32 v5, v4, s[6:7] offset:49152 scale_offset
	global_load_b32 v6, v4, s[6:7] offset:53248 scale_offset
	;; [unrolled: 1-line block ×4, first 2 shown]
	s_wait_loadcnt 0x2
	ds_store_2addr_stride64_b32 v1, v5, v6 offset0:16 offset1:32
	s_wait_loadcnt 0x0
	ds_store_2addr_stride64_b32 v1, v7, v8 offset0:48 offset1:64
	s_wait_dscnt 0x0
	s_barrier_signal -1
	s_barrier_wait -1
	ds_load_2addr_stride64_b32 v[4:5], v3 offset0:16 offset1:18
	ds_load_2addr_b32 v[6:7], v2 offset0:96 offset1:97
	ds_load_2addr_b32 v[8:9], v2 offset0:98 offset1:99
	ds_load_2addr_stride64_b32 v[10:11], v3 offset0:20 offset1:22
	ds_load_2addr_stride64_b32 v[12:13], v3 offset0:24 offset1:26
	ds_load_2addr_b32 v[14:15], v2 offset0:100 offset1:101
	ds_load_b32 v18, v1 offset:36864
	s_wait_dscnt 0x5
	v_fma_f32 v19, v6, v4, 0
	s_delay_alu instid0(VALU_DEP_1) | instskip(SKIP_4) | instid1(VALU_DEP_1)
	v_fmac_f32_e32 v19, v7, v5
	ds_load_2addr_b32 v[4:5], v2 offset0:102 offset1:103
	ds_load_2addr_stride64_b32 v[6:7], v3 offset0:28 offset1:30
	s_wait_dscnt 0x5
	v_fmac_f32_e32 v19, v8, v10
	v_fmac_f32_e32 v19, v9, v11
	ds_load_2addr_b32 v[8:9], v2 offset0:104 offset1:105
	ds_load_2addr_stride64_b32 v[10:11], v3 offset0:32 offset1:34
	s_wait_dscnt 0x5
	v_fmac_f32_e32 v19, v14, v12
	s_delay_alu instid0(VALU_DEP_1)
	v_fmac_f32_e32 v19, v15, v13
	ds_load_2addr_stride64_b32 v[12:13], v3 offset0:36 offset1:38
	ds_load_2addr_b32 v[14:15], v2 offset0:106 offset1:107
	ds_load_2addr_b32 v[16:17], v2 offset0:108 offset1:109
	s_wait_dscnt 0x5
	v_fmac_f32_e32 v19, v4, v6
	s_delay_alu instid0(VALU_DEP_1) | instskip(SKIP_3) | instid1(VALU_DEP_1)
	v_fmac_f32_e32 v19, v5, v7
	ds_load_2addr_stride64_b32 v[4:5], v3 offset0:40 offset1:42
	s_wait_dscnt 0x4
	v_fmac_f32_e32 v19, v8, v10
	v_fmac_f32_e32 v19, v9, v11
	ds_load_2addr_b32 v[6:7], v2 offset0:110 offset1:111
	ds_load_2addr_stride64_b32 v[8:9], v3 offset0:44 offset1:46
	s_wait_dscnt 0x4
	v_fmac_f32_e32 v19, v14, v12
	s_delay_alu instid0(VALU_DEP_1) | instskip(SKIP_4) | instid1(VALU_DEP_1)
	v_fmac_f32_e32 v19, v15, v13
	ds_load_2addr_b32 v[10:11], v2 offset0:112 offset1:113
	ds_load_2addr_stride64_b32 v[12:13], v3 offset0:48 offset1:50
	s_wait_dscnt 0x4
	v_fmac_f32_e32 v19, v16, v4
	v_fmac_f32_e32 v19, v17, v5
	ds_load_2addr_stride64_b32 v[4:5], v3 offset0:52 offset1:54
	ds_load_2addr_b32 v[14:15], v2 offset0:114 offset1:115
	ds_load_2addr_b32 v[16:17], v2 offset0:116 offset1:117
	s_wait_dscnt 0x5
	v_fmac_f32_e32 v19, v6, v8
	s_delay_alu instid0(VALU_DEP_1) | instskip(SKIP_3) | instid1(VALU_DEP_1)
	v_fmac_f32_e32 v19, v7, v9
	ds_load_2addr_stride64_b32 v[6:7], v3 offset0:56 offset1:58
	s_wait_dscnt 0x4
	v_fmac_f32_e32 v19, v10, v12
	v_fmac_f32_e32 v19, v11, v13
	ds_load_2addr_b32 v[8:9], v2 offset0:118 offset1:119
	ds_load_2addr_stride64_b32 v[10:11], v3 offset0:60 offset1:62
	s_wait_dscnt 0x4
	v_fmac_f32_e32 v19, v14, v4
	s_delay_alu instid0(VALU_DEP_1) | instskip(SKIP_4) | instid1(VALU_DEP_1)
	v_fmac_f32_e32 v19, v15, v5
	ds_load_2addr_b32 v[4:5], v2 offset0:120 offset1:121
	ds_load_2addr_stride64_b32 v[12:13], v3 offset0:64 offset1:66
	s_wait_dscnt 0x4
	v_fmac_f32_e32 v19, v16, v6
	v_fmac_f32_e32 v19, v17, v7
	ds_load_2addr_stride64_b32 v[6:7], v3 offset0:68 offset1:70
	ds_load_2addr_b32 v[14:15], v2 offset0:122 offset1:123
	ds_load_2addr_b32 v[16:17], v2 offset0:124 offset1:125
	s_wait_dscnt 0x5
	v_fmac_f32_e32 v19, v8, v10
	s_delay_alu instid0(VALU_DEP_1) | instskip(SKIP_3) | instid1(VALU_DEP_1)
	v_fmac_f32_e32 v19, v9, v11
	ds_load_2addr_stride64_b32 v[8:9], v3 offset0:72 offset1:74
	s_wait_dscnt 0x4
	v_fmac_f32_e32 v19, v4, v12
	v_fmac_f32_e32 v19, v5, v13
	ds_load_2addr_b32 v[4:5], v2 offset0:126 offset1:127
	ds_load_2addr_stride64_b32 v[2:3], v3 offset0:76 offset1:78
	s_wait_dscnt 0x4
	v_fmac_f32_e32 v19, v14, v6
	s_delay_alu instid0(VALU_DEP_1) | instskip(SKIP_1) | instid1(VALU_DEP_1)
	v_fmac_f32_e32 v19, v15, v7
	s_wait_dscnt 0x2
	v_fmac_f32_e32 v19, v16, v8
	s_delay_alu instid0(VALU_DEP_1) | instskip(SKIP_1) | instid1(VALU_DEP_1)
	v_fmac_f32_e32 v19, v17, v9
	s_wait_dscnt 0x0
	v_fmac_f32_e32 v19, v4, v2
	s_delay_alu instid0(VALU_DEP_1) | instskip(NEXT) | instid1(VALU_DEP_1)
	v_fmac_f32_e32 v19, v5, v3
	v_add_f32_e32 v2, v19, v18
	ds_store_b32 v1, v2 offset:36864
	s_wait_dscnt 0x0
	s_barrier_signal -1
	s_barrier_wait -1
	ds_load_b32 v1, v1 offset:36864
	s_wait_dscnt 0x0
	s_wait_kmcnt 0x0
	global_store_b32 v0, v1, s[0:1] scale_offset
	s_endpgm
	.section	.rodata,"a",@progbits
	.p2align	6, 0x0
	.amdhsa_kernel _Z27kernel_128_OuterProduct_128PKfS0_Pf
		.amdhsa_group_segment_fixed_size 0
		.amdhsa_private_segment_fixed_size 0
		.amdhsa_kernarg_size 24
		.amdhsa_user_sgpr_count 2
		.amdhsa_user_sgpr_dispatch_ptr 0
		.amdhsa_user_sgpr_queue_ptr 0
		.amdhsa_user_sgpr_kernarg_segment_ptr 1
		.amdhsa_user_sgpr_dispatch_id 0
		.amdhsa_user_sgpr_kernarg_preload_length 0
		.amdhsa_user_sgpr_kernarg_preload_offset 0
		.amdhsa_user_sgpr_private_segment_size 0
		.amdhsa_wavefront_size32 1
		.amdhsa_uses_dynamic_stack 0
		.amdhsa_enable_private_segment 0
		.amdhsa_system_sgpr_workgroup_id_x 1
		.amdhsa_system_sgpr_workgroup_id_y 1
		.amdhsa_system_sgpr_workgroup_id_z 0
		.amdhsa_system_sgpr_workgroup_info 0
		.amdhsa_system_vgpr_workitem_id 1
		.amdhsa_next_free_vgpr 21
		.amdhsa_next_free_sgpr 10
		.amdhsa_named_barrier_count 0
		.amdhsa_reserve_vcc 0
		.amdhsa_float_round_mode_32 0
		.amdhsa_float_round_mode_16_64 0
		.amdhsa_float_denorm_mode_32 3
		.amdhsa_float_denorm_mode_16_64 3
		.amdhsa_fp16_overflow 0
		.amdhsa_memory_ordered 1
		.amdhsa_forward_progress 1
		.amdhsa_inst_pref_size 21
		.amdhsa_round_robin_scheduling 0
		.amdhsa_exception_fp_ieee_invalid_op 0
		.amdhsa_exception_fp_denorm_src 0
		.amdhsa_exception_fp_ieee_div_zero 0
		.amdhsa_exception_fp_ieee_overflow 0
		.amdhsa_exception_fp_ieee_underflow 0
		.amdhsa_exception_fp_ieee_inexact 0
		.amdhsa_exception_int_div_zero 0
	.end_amdhsa_kernel
	.text
.Lfunc_end2:
	.size	_Z27kernel_128_OuterProduct_128PKfS0_Pf, .Lfunc_end2-_Z27kernel_128_OuterProduct_128PKfS0_Pf
                                        ; -- End function
	.set _Z27kernel_128_OuterProduct_128PKfS0_Pf.num_vgpr, 21
	.set _Z27kernel_128_OuterProduct_128PKfS0_Pf.num_agpr, 0
	.set _Z27kernel_128_OuterProduct_128PKfS0_Pf.numbered_sgpr, 10
	.set _Z27kernel_128_OuterProduct_128PKfS0_Pf.num_named_barrier, 0
	.set _Z27kernel_128_OuterProduct_128PKfS0_Pf.private_seg_size, 0
	.set _Z27kernel_128_OuterProduct_128PKfS0_Pf.uses_vcc, 0
	.set _Z27kernel_128_OuterProduct_128PKfS0_Pf.uses_flat_scratch, 0
	.set _Z27kernel_128_OuterProduct_128PKfS0_Pf.has_dyn_sized_stack, 0
	.set _Z27kernel_128_OuterProduct_128PKfS0_Pf.has_recursion, 0
	.set _Z27kernel_128_OuterProduct_128PKfS0_Pf.has_indirect_call, 0
	.section	.AMDGPU.csdata,"",@progbits
; Kernel info:
; codeLenInByte = 2668
; TotalNumSgprs: 10
; NumVgprs: 21
; ScratchSize: 0
; MemoryBound: 0
; FloatMode: 240
; IeeeMode: 1
; LDSByteSize: 0 bytes/workgroup (compile time only)
; SGPRBlocks: 0
; VGPRBlocks: 1
; NumSGPRsForWavesPerEU: 10
; NumVGPRsForWavesPerEU: 21
; NamedBarCnt: 0
; Occupancy: 16
; WaveLimiterHint : 1
; COMPUTE_PGM_RSRC2:SCRATCH_EN: 0
; COMPUTE_PGM_RSRC2:USER_SGPR: 2
; COMPUTE_PGM_RSRC2:TRAP_HANDLER: 0
; COMPUTE_PGM_RSRC2:TGID_X_EN: 1
; COMPUTE_PGM_RSRC2:TGID_Y_EN: 1
; COMPUTE_PGM_RSRC2:TGID_Z_EN: 0
; COMPUTE_PGM_RSRC2:TIDIG_COMP_CNT: 1
	.text
	.p2alignl 7, 3214868480
	.fill 96, 4, 3214868480
	.section	.AMDGPU.gpr_maximums,"",@progbits
	.set amdgpu.max_num_vgpr, 0
	.set amdgpu.max_num_agpr, 0
	.set amdgpu.max_num_sgpr, 0
	.text
	.type	__hip_cuid_7bb9a487ccdc78dc,@object ; @__hip_cuid_7bb9a487ccdc78dc
	.section	.bss,"aw",@nobits
	.globl	__hip_cuid_7bb9a487ccdc78dc
__hip_cuid_7bb9a487ccdc78dc:
	.byte	0                               ; 0x0
	.size	__hip_cuid_7bb9a487ccdc78dc, 1

	.ident	"AMD clang version 22.0.0git (https://github.com/RadeonOpenCompute/llvm-project roc-7.2.4 26084 f58b06dce1f9c15707c5f808fd002e18c2accf7e)"
	.section	".note.GNU-stack","",@progbits
	.addrsig
	.addrsig_sym __hip_cuid_7bb9a487ccdc78dc
	.amdgpu_metadata
---
amdhsa.kernels:
  - .args:
      - .actual_access:  read_only
        .address_space:  global
        .offset:         0
        .size:           8
        .value_kind:     global_buffer
      - .actual_access:  write_only
        .address_space:  global
        .offset:         8
        .size:           8
        .value_kind:     global_buffer
    .group_segment_fixed_size: 0
    .kernarg_segment_align: 8
    .kernarg_segment_size: 16
    .language:       OpenCL C
    .language_version:
      - 2
      - 0
    .max_flat_workgroup_size: 1024
    .name:           _Z24kernel_128_winograd_BtdBPKfPf
    .private_segment_fixed_size: 0
    .sgpr_count:     10
    .sgpr_spill_count: 0
    .symbol:         _Z24kernel_128_winograd_BtdBPKfPf.kd
    .uniform_work_group_size: 1
    .uses_dynamic_stack: false
    .vgpr_count:     34
    .vgpr_spill_count: 0
    .wavefront_size: 32
  - .args:
      - .actual_access:  read_only
        .address_space:  global
        .offset:         0
        .size:           8
        .value_kind:     global_buffer
      - .actual_access:  read_only
        .address_space:  global
        .offset:         8
        .size:           8
        .value_kind:     global_buffer
      - .actual_access:  read_only
        .address_space:  global
        .offset:         16
        .size:           8
        .value_kind:     global_buffer
      - .actual_access:  write_only
        .address_space:  global
        .offset:         24
        .size:           8
        .value_kind:     global_buffer
    .group_segment_fixed_size: 8
    .kernarg_segment_align: 8
    .kernarg_segment_size: 32
    .language:       OpenCL C
    .language_version:
      - 2
      - 0
    .max_flat_workgroup_size: 1024
    .name:           _Z24kernel_128_winograd_AtIAPKfS0_S0_Pf
    .private_segment_fixed_size: 0
    .sgpr_count:     17
    .sgpr_spill_count: 0
    .symbol:         _Z24kernel_128_winograd_AtIAPKfS0_S0_Pf.kd
    .uniform_work_group_size: 1
    .uses_dynamic_stack: false
    .vgpr_count:     10
    .vgpr_spill_count: 0
    .wavefront_size: 32
  - .args:
      - .actual_access:  read_only
        .address_space:  global
        .offset:         0
        .size:           8
        .value_kind:     global_buffer
      - .actual_access:  read_only
        .address_space:  global
        .offset:         8
        .size:           8
        .value_kind:     global_buffer
      - .actual_access:  write_only
        .address_space:  global
        .offset:         16
        .size:           8
        .value_kind:     global_buffer
    .group_segment_fixed_size: 0
    .kernarg_segment_align: 8
    .kernarg_segment_size: 24
    .language:       OpenCL C
    .language_version:
      - 2
      - 0
    .max_flat_workgroup_size: 1024
    .name:           _Z27kernel_128_OuterProduct_128PKfS0_Pf
    .private_segment_fixed_size: 0
    .sgpr_count:     10
    .sgpr_spill_count: 0
    .symbol:         _Z27kernel_128_OuterProduct_128PKfS0_Pf.kd
    .uniform_work_group_size: 1
    .uses_dynamic_stack: false
    .vgpr_count:     21
    .vgpr_spill_count: 0
    .wavefront_size: 32
amdhsa.target:   amdgcn-amd-amdhsa--gfx1250
amdhsa.version:
  - 1
  - 2
...

	.end_amdgpu_metadata
